;; amdgpu-corpus repo=zjin-lcf/HeCBench kind=compiled arch=gfx1030 opt=O3
	.amdgcn_target "amdgcn-amd-amdhsa--gfx1030"
	.amdhsa_code_object_version 6
	.text
	.protected	_Z5task1PdS_ii          ; -- Begin function _Z5task1PdS_ii
	.globl	_Z5task1PdS_ii
	.p2align	8
	.type	_Z5task1PdS_ii,@function
_Z5task1PdS_ii:                         ; @_Z5task1PdS_ii
; %bb.0:
	s_mov_b64 s[102:103], s[2:3]
	s_mov_b64 s[100:101], s[0:1]
	s_clause 0x2
	s_load_dwordx4 s[0:3], s[4:5], 0x8
	s_load_dword s10, s[4:5], 0x18
	s_load_dword s11, s[4:5], 0x24
	s_add_u32 s100, s100, s8
	s_addc_u32 s101, s101, 0
	s_add_u32 s8, s4, 24
	s_addc_u32 s9, s5, 0
	s_waitcnt lgkmcnt(0)
	s_load_dwordx2 s[12:13], s[0:1], 0x10
	s_mul_i32 s2, s10, s2
	s_and_b32 s10, s11, 0xffff
	s_add_i32 s2, s2, s6
	v_mad_u64_u32 v[26:27], null, s2, s10, v[0:1]
	s_mov_b32 s2, exec_lo
	v_cvt_f64_u32_e32 v[2:3], v26
	s_waitcnt lgkmcnt(0)
	v_cmpx_nle_f64_e32 s[12:13], v[2:3]
	s_cbranch_execz .LBB0_148
; %bb.1:
	s_clause 0x1
	s_load_dword s2, s[8:9], 0x4
	s_load_dword s6, s[8:9], 0xc
	s_waitcnt lgkmcnt(0)
	s_mul_i32 s2, s2, s3
	s_lshr_b32 s3, s6, 16
	s_add_i32 s2, s2, s7
	v_mad_u64_u32 v[27:28], null, s2, s3, v[1:2]
	v_cvt_f64_u32_e32 v[0:1], v27
	v_cmp_nle_f64_e32 vcc_lo, s[12:13], v[0:1]
	s_and_b32 exec_lo, exec_lo, vcc_lo
	s_cbranch_execz .LBB0_148
; %bb.2:
	s_load_dwordx4 s[8:11], s[0:1], 0x0
	s_mov_b32 s0, 0xa1fae712
	s_mov_b32 s1, 0x3f91df46
	s_waitcnt lgkmcnt(0)
	v_mul_f64 v[4:5], s[10:11], s[0:1]
	v_readfirstlane_b32 s30, v4
	v_readfirstlane_b32 s31, v5
	v_cmp_ngt_f64_e64 s10, 0x41d00000, |v[4:5]|
	v_trig_preop_f64 v[18:19], |s[30:31]|, 0
	v_trig_preop_f64 v[16:17], |s[30:31]|, 1
	v_cmp_le_f64_e64 s0, 0x7b000000, |s[30:31]|
	v_ldexp_f64 v[20:21], |s[30:31]|, 0xffffff80
	v_trig_preop_f64 v[8:9], |s[30:31]|, 2
	s_and_b32 vcc_lo, exec_lo, s10
	s_cbranch_vccz .LBB0_4
; %bb.3:
	s_and_b32 s1, s31, 0x7fffffff
	v_cndmask_b32_e64 v4, s30, v20, s0
	v_cndmask_b32_e64 v5, s1, v21, s0
	s_mov_b32 s0, 0
	s_mov_b32 s2, 0x54442d18
	;; [unrolled: 1-line block ×4, first 2 shown]
	v_mul_f64 v[6:7], v[18:19], v[4:5]
	v_mul_f64 v[10:11], v[16:17], v[4:5]
	;; [unrolled: 1-line block ×3, first 2 shown]
	s_mov_b32 s7, 0x3c91a626
	v_fma_f64 v[12:13], v[18:19], v[4:5], -v[6:7]
	v_fma_f64 v[32:33], v[16:17], v[4:5], -v[10:11]
	;; [unrolled: 1-line block ×3, first 2 shown]
	v_add_f64 v[14:15], v[10:11], v[12:13]
	v_add_f64 v[22:23], v[14:15], -v[10:11]
	v_add_f64 v[28:29], v[6:7], v[14:15]
	v_add_f64 v[24:25], v[14:15], -v[22:23]
	v_add_f64 v[12:13], v[12:13], -v[22:23]
	v_ldexp_f64 v[22:23], v[28:29], -2
	v_add_f64 v[6:7], v[28:29], -v[6:7]
	v_add_f64 v[10:11], v[10:11], -v[24:25]
	v_add_f64 v[24:25], v[30:31], v[32:33]
	v_cmp_neq_f64_e64 vcc_lo, 0x7ff00000, |v[22:23]|
	v_add_f64 v[6:7], v[14:15], -v[6:7]
	v_add_f64 v[10:11], v[12:13], v[10:11]
	v_fract_f64_e32 v[12:13], v[22:23]
	v_add_f64 v[14:15], v[24:25], v[10:11]
	v_ldexp_f64 v[12:13], v[12:13], 2
	v_add_f64 v[22:23], v[6:7], v[14:15]
	v_cndmask_b32_e32 v13, 0, v13, vcc_lo
	v_cndmask_b32_e32 v12, 0, v12, vcc_lo
	v_add_f64 v[34:35], v[14:15], -v[24:25]
	v_add_f64 v[28:29], v[22:23], v[12:13]
	v_add_f64 v[6:7], v[22:23], -v[6:7]
	v_add_f64 v[40:41], v[14:15], -v[34:35]
	;; [unrolled: 1-line block ×3, first 2 shown]
	v_cmp_gt_f64_e32 vcc_lo, 0, v[28:29]
	v_add_f64 v[28:29], v[24:25], -v[30:31]
	v_add_f64 v[6:7], v[14:15], -v[6:7]
	s_and_b32 s1, vcc_lo, exec_lo
	s_cselect_b32 s1, 0x40100000, 0
	v_add_f64 v[38:39], v[24:25], -v[28:29]
	v_add_f64 v[12:13], v[12:13], s[0:1]
	v_add_f64 v[28:29], v[32:33], -v[28:29]
	v_add_f64 v[24:25], v[24:25], -v[40:41]
	;; [unrolled: 1-line block ×3, first 2 shown]
	v_add_f64 v[36:37], v[22:23], v[12:13]
	v_add_f64 v[10:11], v[10:11], v[24:25]
	;; [unrolled: 1-line block ×3, first 2 shown]
	v_cvt_i32_f64_e32 v36, v[36:37]
	v_add_f64 v[10:11], v[28:29], v[10:11]
	v_cvt_f64_i32_e32 v[34:35], v36
	v_add_f64 v[4:5], v[4:5], v[10:11]
	v_add_f64 v[12:13], v[12:13], -v[34:35]
	v_add_f64 v[4:5], v[6:7], v[4:5]
	v_add_f64 v[24:25], v[22:23], v[12:13]
	v_add_f64 v[10:11], v[24:25], -v[12:13]
	v_cmp_le_f64_e32 vcc_lo, 0.5, v[24:25]
	v_add_f64 v[6:7], v[22:23], -v[10:11]
	s_and_b32 s1, vcc_lo, exec_lo
	s_cselect_b32 s1, 0x3ff00000, 0
	v_add_co_ci_u32_e64 v32, null, 0, v36, vcc_lo
	v_add_f64 v[4:5], v[4:5], v[6:7]
	v_add_f64 v[6:7], v[24:25], -s[0:1]
	v_add_f64 v[10:11], v[6:7], v[4:5]
	v_mul_f64 v[12:13], v[10:11], s[2:3]
	v_add_f64 v[6:7], v[10:11], -v[6:7]
	v_fma_f64 v[14:15], v[10:11], s[2:3], -v[12:13]
	v_add_f64 v[4:5], v[4:5], -v[6:7]
	v_fma_f64 v[6:7], v[10:11], s[6:7], v[14:15]
	v_fma_f64 v[6:7], v[4:5], s[2:3], v[6:7]
	v_add_f64 v[4:5], v[12:13], v[6:7]
	v_add_f64 v[10:11], v[4:5], -v[12:13]
	v_add_f64 v[6:7], v[6:7], -v[10:11]
	s_cbranch_execz .LBB0_5
	s_branch .LBB0_6
.LBB0_4:
                                        ; implicit-def: $vgpr32
                                        ; implicit-def: $vgpr4_vgpr5
                                        ; implicit-def: $vgpr6_vgpr7
.LBB0_5:
	s_mov_b32 s0, 0x6dc9c883
	s_mov_b32 s1, 0x3fe45f30
	;; [unrolled: 1-line block ×3, first 2 shown]
	v_mul_f64 v[4:5], |s[30:31]|, s[0:1]
	s_mov_b32 s0, 0x54442d18
	s_mov_b32 s1, 0xbff921fb
	;; [unrolled: 1-line block ×3, first 2 shown]
	v_rndne_f64_e32 v[10:11], v[4:5]
	v_fma_f64 v[4:5], v[10:11], s[0:1], |s[30:31]|
	v_mul_f64 v[6:7], v[10:11], s[2:3]
	s_mov_b32 s0, 0x252049c0
	s_mov_b32 s1, 0xb97b839a
	v_cvt_i32_f64_e32 v32, v[10:11]
	v_fma_f64 v[14:15], v[10:11], s[2:3], v[4:5]
	v_add_f64 v[12:13], v[4:5], v[6:7]
	s_mov_b32 s3, 0x3c91a626
	v_add_f64 v[4:5], v[4:5], -v[12:13]
	v_add_f64 v[12:13], v[12:13], -v[14:15]
	v_add_f64 v[4:5], v[4:5], v[6:7]
	v_fma_f64 v[6:7], v[10:11], s[2:3], v[6:7]
	v_add_f64 v[4:5], v[12:13], v[4:5]
	v_add_f64 v[4:5], v[4:5], -v[6:7]
	v_fma_f64 v[6:7], v[10:11], s[0:1], v[4:5]
	v_add_f64 v[4:5], v[14:15], v[6:7]
	v_add_f64 v[12:13], v[4:5], -v[14:15]
	v_add_f64 v[6:7], v[6:7], -v[12:13]
.LBB0_6:
	s_and_b32 vcc_lo, exec_lo, s10
	s_cbranch_vccz .LBB0_8
; %bb.7:
	v_cmp_le_f64_e64 vcc_lo, 0x7b000000, |s[30:31]|
	s_and_b32 s0, s31, 0x7fffffff
	s_mov_b32 s2, 0x54442d18
	s_mov_b32 s3, 0x3ff921fb
	;; [unrolled: 1-line block ×4, first 2 shown]
	v_cndmask_b32_e32 v11, s0, v21, vcc_lo
	v_cndmask_b32_e32 v10, s30, v20, vcc_lo
	s_mov_b32 s0, 0
	v_mul_f64 v[12:13], v[18:19], v[10:11]
	v_mul_f64 v[14:15], v[16:17], v[10:11]
	;; [unrolled: 1-line block ×3, first 2 shown]
	v_fma_f64 v[22:23], v[18:19], v[10:11], -v[12:13]
	v_fma_f64 v[37:38], v[16:17], v[10:11], -v[14:15]
	;; [unrolled: 1-line block ×3, first 2 shown]
	v_add_f64 v[24:25], v[14:15], v[22:23]
	v_add_f64 v[28:29], v[24:25], -v[14:15]
	v_add_f64 v[33:34], v[12:13], v[24:25]
	v_add_f64 v[30:31], v[24:25], -v[28:29]
	v_add_f64 v[22:23], v[22:23], -v[28:29]
	v_ldexp_f64 v[28:29], v[33:34], -2
	v_add_f64 v[12:13], v[33:34], -v[12:13]
	v_add_f64 v[14:15], v[14:15], -v[30:31]
	v_add_f64 v[30:31], v[35:36], v[37:38]
	v_cmp_neq_f64_e64 vcc_lo, 0x7ff00000, |v[28:29]|
	v_add_f64 v[12:13], v[24:25], -v[12:13]
	v_add_f64 v[14:15], v[22:23], v[14:15]
	v_fract_f64_e32 v[22:23], v[28:29]
	v_add_f64 v[24:25], v[30:31], v[14:15]
	v_ldexp_f64 v[22:23], v[22:23], 2
	v_add_f64 v[28:29], v[12:13], v[24:25]
	v_cndmask_b32_e32 v23, 0, v23, vcc_lo
	v_cndmask_b32_e32 v22, 0, v22, vcc_lo
	v_add_f64 v[39:40], v[24:25], -v[30:31]
	v_add_f64 v[33:34], v[28:29], v[22:23]
	v_add_f64 v[12:13], v[28:29], -v[12:13]
	v_add_f64 v[45:46], v[24:25], -v[39:40]
	;; [unrolled: 1-line block ×3, first 2 shown]
	v_cmp_gt_f64_e32 vcc_lo, 0, v[33:34]
	v_add_f64 v[33:34], v[30:31], -v[35:36]
	v_add_f64 v[12:13], v[24:25], -v[12:13]
	s_and_b32 s1, vcc_lo, exec_lo
	s_cselect_b32 s1, 0x40100000, 0
	v_add_f64 v[43:44], v[30:31], -v[33:34]
	v_add_f64 v[22:23], v[22:23], s[0:1]
	v_add_f64 v[33:34], v[37:38], -v[33:34]
	v_add_f64 v[30:31], v[30:31], -v[45:46]
	;; [unrolled: 1-line block ×3, first 2 shown]
	v_add_f64 v[41:42], v[28:29], v[22:23]
	v_add_f64 v[14:15], v[14:15], v[30:31]
	v_add_f64 v[33:34], v[33:34], v[37:38]
	v_cvt_i32_f64_e32 v41, v[41:42]
	v_add_f64 v[14:15], v[33:34], v[14:15]
	v_cvt_f64_i32_e32 v[39:40], v41
	v_add_f64 v[10:11], v[10:11], v[14:15]
	v_add_f64 v[22:23], v[22:23], -v[39:40]
	v_add_f64 v[10:11], v[12:13], v[10:11]
	v_add_f64 v[30:31], v[28:29], v[22:23]
	v_add_f64 v[14:15], v[30:31], -v[22:23]
	v_cmp_le_f64_e32 vcc_lo, 0.5, v[30:31]
	v_add_f64 v[12:13], v[28:29], -v[14:15]
	s_and_b32 s1, vcc_lo, exec_lo
	s_cselect_b32 s1, 0x3ff00000, 0
	v_add_co_ci_u32_e64 v33, null, 0, v41, vcc_lo
	v_add_f64 v[10:11], v[10:11], v[12:13]
	v_add_f64 v[12:13], v[30:31], -s[0:1]
	v_add_f64 v[14:15], v[12:13], v[10:11]
	v_mul_f64 v[22:23], v[14:15], s[2:3]
	v_add_f64 v[12:13], v[14:15], -v[12:13]
	v_fma_f64 v[24:25], v[14:15], s[2:3], -v[22:23]
	v_add_f64 v[10:11], v[10:11], -v[12:13]
	v_fma_f64 v[12:13], v[14:15], s[6:7], v[24:25]
	v_fma_f64 v[12:13], v[10:11], s[2:3], v[12:13]
	v_add_f64 v[10:11], v[22:23], v[12:13]
	v_add_f64 v[14:15], v[10:11], -v[22:23]
	v_add_f64 v[12:13], v[12:13], -v[14:15]
	s_cbranch_execz .LBB0_9
	s_branch .LBB0_10
.LBB0_8:
                                        ; implicit-def: $vgpr33
                                        ; implicit-def: $vgpr10_vgpr11
                                        ; implicit-def: $vgpr12_vgpr13
.LBB0_9:
	s_mov_b32 s0, 0x6dc9c883
	s_mov_b32 s1, 0x3fe45f30
	;; [unrolled: 1-line block ×3, first 2 shown]
	v_mul_f64 v[10:11], |s[30:31]|, s[0:1]
	s_mov_b32 s0, 0x54442d18
	s_mov_b32 s1, 0xbff921fb
	;; [unrolled: 1-line block ×3, first 2 shown]
	v_rndne_f64_e32 v[14:15], v[10:11]
	v_fma_f64 v[10:11], v[14:15], s[0:1], |s[30:31]|
	v_mul_f64 v[12:13], v[14:15], s[2:3]
	s_mov_b32 s0, 0x252049c0
	s_mov_b32 s1, 0xb97b839a
	v_cvt_i32_f64_e32 v33, v[14:15]
	v_fma_f64 v[24:25], v[14:15], s[2:3], v[10:11]
	v_add_f64 v[22:23], v[10:11], v[12:13]
	s_mov_b32 s3, 0x3c91a626
	v_add_f64 v[10:11], v[10:11], -v[22:23]
	v_add_f64 v[22:23], v[22:23], -v[24:25]
	v_add_f64 v[10:11], v[10:11], v[12:13]
	v_fma_f64 v[12:13], v[14:15], s[2:3], v[12:13]
	v_add_f64 v[10:11], v[22:23], v[10:11]
	v_add_f64 v[10:11], v[10:11], -v[12:13]
	v_fma_f64 v[12:13], v[14:15], s[0:1], v[10:11]
	v_add_f64 v[10:11], v[24:25], v[12:13]
	v_add_f64 v[22:23], v[10:11], -v[24:25]
	v_add_f64 v[12:13], v[12:13], -v[22:23]
.LBB0_10:
	s_and_b32 vcc_lo, exec_lo, s10
	s_cbranch_vccz .LBB0_12
; %bb.11:
	v_cmp_le_f64_e64 vcc_lo, 0x7b000000, |s[30:31]|
	s_and_b32 s0, s31, 0x7fffffff
	s_mov_b32 s2, 0x54442d18
	s_mov_b32 s3, 0x3ff921fb
	;; [unrolled: 1-line block ×4, first 2 shown]
	v_cndmask_b32_e32 v15, s0, v21, vcc_lo
	v_cndmask_b32_e32 v14, s30, v20, vcc_lo
	s_mov_b32 s0, 0
	v_mul_f64 v[22:23], v[18:19], v[14:15]
	v_mul_f64 v[24:25], v[16:17], v[14:15]
	;; [unrolled: 1-line block ×3, first 2 shown]
	v_fma_f64 v[28:29], v[18:19], v[14:15], -v[22:23]
	v_fma_f64 v[42:43], v[16:17], v[14:15], -v[24:25]
	;; [unrolled: 1-line block ×3, first 2 shown]
	v_add_f64 v[30:31], v[24:25], v[28:29]
	v_add_f64 v[34:35], v[30:31], -v[24:25]
	v_add_f64 v[38:39], v[22:23], v[30:31]
	v_add_f64 v[36:37], v[30:31], -v[34:35]
	v_add_f64 v[28:29], v[28:29], -v[34:35]
	v_ldexp_f64 v[34:35], v[38:39], -2
	v_add_f64 v[22:23], v[38:39], -v[22:23]
	v_add_f64 v[24:25], v[24:25], -v[36:37]
	v_add_f64 v[36:37], v[40:41], v[42:43]
	v_cmp_neq_f64_e64 vcc_lo, 0x7ff00000, |v[34:35]|
	v_add_f64 v[22:23], v[30:31], -v[22:23]
	v_add_f64 v[24:25], v[28:29], v[24:25]
	v_fract_f64_e32 v[28:29], v[34:35]
	v_add_f64 v[30:31], v[36:37], v[24:25]
	v_ldexp_f64 v[28:29], v[28:29], 2
	v_add_f64 v[34:35], v[22:23], v[30:31]
	v_cndmask_b32_e32 v29, 0, v29, vcc_lo
	v_cndmask_b32_e32 v28, 0, v28, vcc_lo
	v_add_f64 v[44:45], v[30:31], -v[36:37]
	v_add_f64 v[38:39], v[34:35], v[28:29]
	v_add_f64 v[22:23], v[34:35], -v[22:23]
	v_add_f64 v[50:51], v[30:31], -v[44:45]
	;; [unrolled: 1-line block ×3, first 2 shown]
	v_cmp_gt_f64_e32 vcc_lo, 0, v[38:39]
	v_add_f64 v[38:39], v[36:37], -v[40:41]
	v_add_f64 v[22:23], v[30:31], -v[22:23]
	s_and_b32 s1, vcc_lo, exec_lo
	s_cselect_b32 s1, 0x40100000, 0
	v_add_f64 v[48:49], v[36:37], -v[38:39]
	v_add_f64 v[28:29], v[28:29], s[0:1]
	v_add_f64 v[38:39], v[42:43], -v[38:39]
	v_add_f64 v[36:37], v[36:37], -v[50:51]
	;; [unrolled: 1-line block ×3, first 2 shown]
	v_add_f64 v[46:47], v[34:35], v[28:29]
	v_add_f64 v[24:25], v[24:25], v[36:37]
	;; [unrolled: 1-line block ×3, first 2 shown]
	v_cvt_i32_f64_e32 v46, v[46:47]
	v_add_f64 v[24:25], v[38:39], v[24:25]
	v_cvt_f64_i32_e32 v[44:45], v46
	v_add_f64 v[14:15], v[14:15], v[24:25]
	v_add_f64 v[28:29], v[28:29], -v[44:45]
	v_add_f64 v[14:15], v[22:23], v[14:15]
	v_add_f64 v[36:37], v[34:35], v[28:29]
	v_add_f64 v[24:25], v[36:37], -v[28:29]
	v_cmp_le_f64_e32 vcc_lo, 0.5, v[36:37]
	v_add_f64 v[22:23], v[34:35], -v[24:25]
	s_and_b32 s1, vcc_lo, exec_lo
	s_cselect_b32 s1, 0x3ff00000, 0
	v_add_co_ci_u32_e64 v34, null, 0, v46, vcc_lo
	v_add_f64 v[14:15], v[14:15], v[22:23]
	v_add_f64 v[22:23], v[36:37], -s[0:1]
	v_add_f64 v[24:25], v[22:23], v[14:15]
	v_mul_f64 v[28:29], v[24:25], s[2:3]
	v_add_f64 v[22:23], v[24:25], -v[22:23]
	v_fma_f64 v[30:31], v[24:25], s[2:3], -v[28:29]
	v_add_f64 v[14:15], v[14:15], -v[22:23]
	v_fma_f64 v[22:23], v[24:25], s[6:7], v[30:31]
	v_fma_f64 v[22:23], v[14:15], s[2:3], v[22:23]
	v_add_f64 v[14:15], v[28:29], v[22:23]
	v_add_f64 v[24:25], v[14:15], -v[28:29]
	v_add_f64 v[22:23], v[22:23], -v[24:25]
	s_cbranch_execz .LBB0_13
	s_branch .LBB0_14
.LBB0_12:
                                        ; implicit-def: $vgpr34
                                        ; implicit-def: $vgpr14_vgpr15
                                        ; implicit-def: $vgpr22_vgpr23
.LBB0_13:
	s_mov_b32 s0, 0x6dc9c883
	s_mov_b32 s1, 0x3fe45f30
	;; [unrolled: 1-line block ×3, first 2 shown]
	v_mul_f64 v[14:15], |s[30:31]|, s[0:1]
	s_mov_b32 s0, 0x54442d18
	s_mov_b32 s1, 0xbff921fb
	;; [unrolled: 1-line block ×3, first 2 shown]
	v_rndne_f64_e32 v[24:25], v[14:15]
	v_fma_f64 v[14:15], v[24:25], s[0:1], |s[30:31]|
	v_mul_f64 v[22:23], v[24:25], s[2:3]
	s_mov_b32 s0, 0x252049c0
	s_mov_b32 s1, 0xb97b839a
	v_cvt_i32_f64_e32 v34, v[24:25]
	v_fma_f64 v[30:31], v[24:25], s[2:3], v[14:15]
	v_add_f64 v[28:29], v[14:15], v[22:23]
	s_mov_b32 s3, 0x3c91a626
	v_add_f64 v[14:15], v[14:15], -v[28:29]
	v_add_f64 v[28:29], v[28:29], -v[30:31]
	v_add_f64 v[14:15], v[14:15], v[22:23]
	v_fma_f64 v[22:23], v[24:25], s[2:3], v[22:23]
	v_add_f64 v[14:15], v[28:29], v[14:15]
	v_add_f64 v[14:15], v[14:15], -v[22:23]
	v_fma_f64 v[22:23], v[24:25], s[0:1], v[14:15]
	v_add_f64 v[14:15], v[30:31], v[22:23]
	v_add_f64 v[28:29], v[14:15], -v[30:31]
	v_add_f64 v[22:23], v[22:23], -v[28:29]
.LBB0_14:
	s_and_b32 vcc_lo, exec_lo, s10
	s_cbranch_vccz .LBB0_16
; %bb.15:
	v_cmp_le_f64_e64 vcc_lo, 0x7b000000, |s[30:31]|
	s_and_b32 s0, s31, 0x7fffffff
	s_mov_b32 s2, 0x54442d18
	s_mov_b32 s3, 0x3ff921fb
	;; [unrolled: 1-line block ×4, first 2 shown]
	v_cndmask_b32_e32 v25, s0, v21, vcc_lo
	v_cndmask_b32_e32 v24, s30, v20, vcc_lo
	s_mov_b32 s0, 0
	v_mul_f64 v[28:29], v[18:19], v[24:25]
	v_mul_f64 v[30:31], v[16:17], v[24:25]
	;; [unrolled: 1-line block ×3, first 2 shown]
	v_fma_f64 v[35:36], v[18:19], v[24:25], -v[28:29]
	v_fma_f64 v[47:48], v[16:17], v[24:25], -v[30:31]
	;; [unrolled: 1-line block ×3, first 2 shown]
	v_add_f64 v[37:38], v[30:31], v[35:36]
	v_add_f64 v[39:40], v[37:38], -v[30:31]
	v_add_f64 v[43:44], v[28:29], v[37:38]
	v_add_f64 v[41:42], v[37:38], -v[39:40]
	v_add_f64 v[35:36], v[35:36], -v[39:40]
	v_ldexp_f64 v[39:40], v[43:44], -2
	v_add_f64 v[28:29], v[43:44], -v[28:29]
	v_add_f64 v[30:31], v[30:31], -v[41:42]
	v_add_f64 v[41:42], v[45:46], v[47:48]
	v_cmp_neq_f64_e64 vcc_lo, 0x7ff00000, |v[39:40]|
	v_add_f64 v[28:29], v[37:38], -v[28:29]
	v_add_f64 v[30:31], v[35:36], v[30:31]
	v_fract_f64_e32 v[35:36], v[39:40]
	v_add_f64 v[37:38], v[41:42], v[30:31]
	v_ldexp_f64 v[35:36], v[35:36], 2
	v_add_f64 v[39:40], v[28:29], v[37:38]
	v_cndmask_b32_e32 v36, 0, v36, vcc_lo
	v_cndmask_b32_e32 v35, 0, v35, vcc_lo
	v_add_f64 v[49:50], v[37:38], -v[41:42]
	v_add_f64 v[43:44], v[39:40], v[35:36]
	v_add_f64 v[28:29], v[39:40], -v[28:29]
	v_add_f64 v[55:56], v[37:38], -v[49:50]
	v_add_f64 v[30:31], v[30:31], -v[49:50]
	v_cmp_gt_f64_e32 vcc_lo, 0, v[43:44]
	v_add_f64 v[43:44], v[41:42], -v[45:46]
	v_add_f64 v[28:29], v[37:38], -v[28:29]
	s_and_b32 s1, vcc_lo, exec_lo
	s_cselect_b32 s1, 0x40100000, 0
	v_add_f64 v[53:54], v[41:42], -v[43:44]
	v_add_f64 v[35:36], v[35:36], s[0:1]
	v_add_f64 v[43:44], v[47:48], -v[43:44]
	v_add_f64 v[41:42], v[41:42], -v[55:56]
	;; [unrolled: 1-line block ×3, first 2 shown]
	v_add_f64 v[51:52], v[39:40], v[35:36]
	v_add_f64 v[30:31], v[30:31], v[41:42]
	;; [unrolled: 1-line block ×3, first 2 shown]
	v_cvt_i32_f64_e32 v51, v[51:52]
	v_add_f64 v[30:31], v[43:44], v[30:31]
	v_cvt_f64_i32_e32 v[49:50], v51
	v_add_f64 v[24:25], v[24:25], v[30:31]
	v_add_f64 v[35:36], v[35:36], -v[49:50]
	v_add_f64 v[24:25], v[28:29], v[24:25]
	v_add_f64 v[41:42], v[39:40], v[35:36]
	v_add_f64 v[30:31], v[41:42], -v[35:36]
	v_cmp_le_f64_e32 vcc_lo, 0.5, v[41:42]
	v_add_f64 v[28:29], v[39:40], -v[30:31]
	s_and_b32 s1, vcc_lo, exec_lo
	s_cselect_b32 s1, 0x3ff00000, 0
	v_add_co_ci_u32_e64 v35, null, 0, v51, vcc_lo
	v_add_f64 v[24:25], v[24:25], v[28:29]
	v_add_f64 v[28:29], v[41:42], -s[0:1]
	v_add_f64 v[30:31], v[28:29], v[24:25]
	v_mul_f64 v[36:37], v[30:31], s[2:3]
	v_add_f64 v[28:29], v[30:31], -v[28:29]
	v_fma_f64 v[38:39], v[30:31], s[2:3], -v[36:37]
	v_add_f64 v[24:25], v[24:25], -v[28:29]
	v_fma_f64 v[28:29], v[30:31], s[6:7], v[38:39]
	v_fma_f64 v[28:29], v[24:25], s[2:3], v[28:29]
	v_add_f64 v[24:25], v[36:37], v[28:29]
	v_add_f64 v[30:31], v[24:25], -v[36:37]
	v_add_f64 v[28:29], v[28:29], -v[30:31]
	s_cbranch_execz .LBB0_17
	s_branch .LBB0_18
.LBB0_16:
                                        ; implicit-def: $vgpr35
                                        ; implicit-def: $vgpr24_vgpr25
                                        ; implicit-def: $vgpr28_vgpr29
.LBB0_17:
	s_mov_b32 s0, 0x6dc9c883
	s_mov_b32 s1, 0x3fe45f30
	;; [unrolled: 1-line block ×3, first 2 shown]
	v_mul_f64 v[24:25], |s[30:31]|, s[0:1]
	s_mov_b32 s0, 0x54442d18
	s_mov_b32 s1, 0xbff921fb
	;; [unrolled: 1-line block ×3, first 2 shown]
	v_rndne_f64_e32 v[30:31], v[24:25]
	v_fma_f64 v[24:25], v[30:31], s[0:1], |s[30:31]|
	v_mul_f64 v[28:29], v[30:31], s[2:3]
	s_mov_b32 s0, 0x252049c0
	s_mov_b32 s1, 0xb97b839a
	v_fma_f64 v[37:38], v[30:31], s[2:3], v[24:25]
	v_add_f64 v[35:36], v[24:25], v[28:29]
	s_mov_b32 s3, 0x3c91a626
	v_add_f64 v[24:25], v[24:25], -v[35:36]
	v_add_f64 v[35:36], v[35:36], -v[37:38]
	v_add_f64 v[24:25], v[24:25], v[28:29]
	v_fma_f64 v[28:29], v[30:31], s[2:3], v[28:29]
	v_add_f64 v[24:25], v[35:36], v[24:25]
	v_add_f64 v[24:25], v[24:25], -v[28:29]
	v_fma_f64 v[28:29], v[30:31], s[0:1], v[24:25]
	v_add_f64 v[24:25], v[37:38], v[28:29]
	v_add_f64 v[35:36], v[24:25], -v[37:38]
	v_add_f64 v[28:29], v[28:29], -v[35:36]
	v_cvt_i32_f64_e32 v35, v[30:31]
.LBB0_18:
	v_cvt_i32_f64_e32 v30, s[12:13]
	v_fma_f64 v[36:37], s[8:9], s[8:9], 0x412e8480
	v_mul_f64 v[40:41], v[14:15], v[14:15]
	v_mul_f64 v[42:43], v[10:11], v[10:11]
	s_mov_b32 s0, 0xb42fdfa7
	s_mov_b32 s2, 0xf9a43bb8
	s_mov_b32 s1, 0xbe5ae600
	s_mov_b32 s3, 0x3de5e0b2
	v_mul_f64 v[52:53], v[4:5], v[4:5]
	s_mov_b32 s14, 0x796cde01
	s_mov_b32 s15, 0x3ec71de3
	s_mov_b32 s12, 0x46cc5e42
	s_mov_b32 s13, 0xbda907db
	v_mul_f64 v[60:61], v[24:25], v[24:25]
	s_mov_b32 s18, 0x19e83e5c
	s_mov_b32 s19, 0xbf2a01a0
	s_mov_b32 s16, 0xa17f65f6
	s_mov_b32 s17, 0xbe927e4f
	v_mul_f64 v[80:81], v[22:23], 0.5
	v_mul_f64 v[82:83], v[12:13], 0.5
	v_add_f64 v[0:1], v[0:1], 1.0
	v_add_f64 v[2:3], v[2:3], 1.0
	v_cvt_f64_i32_e32 v[30:31], v30
	v_cmp_gt_f64_e32 vcc_lo, 0x10000000, v[36:37]
	v_fma_f64 v[46:47], v[40:41], s[2:3], s[0:1]
	v_fma_f64 v[48:49], v[42:43], s[2:3], s[0:1]
	v_mul_f64 v[56:57], v[40:41], -0.5
	v_mul_f64 v[64:65], v[42:43], -0.5
	v_mul_f64 v[84:85], v[14:15], -v[40:41]
	v_mul_f64 v[86:87], v[10:11], -v[42:43]
	v_fma_f64 v[62:63], v[52:53], s[2:3], s[0:1]
	v_mul_f64 v[70:71], v[52:53], -0.5
	v_mul_f64 v[104:105], v[40:41], v[40:41]
	v_mul_f64 v[106:107], v[42:43], v[42:43]
	v_fma_f64 v[72:73], v[60:61], s[2:3], s[0:1]
	s_mov_b32 s2, 0x11110bb3
	s_mov_b32 s3, 0x3f811111
	;; [unrolled: 1-line block ×4, first 2 shown]
	v_mul_f64 v[90:91], v[60:61], -0.5
	v_add_f64 v[30:31], v[30:31], 1.0
	s_and_b32 s6, vcc_lo, exec_lo
	s_cselect_b32 s6, 0x100, 0
	v_fma_f64 v[46:47], v[40:41], v[46:47], s[14:15]
	v_ldexp_f64 v[36:37], v[36:37], s6
	v_fma_f64 v[48:49], v[42:43], v[48:49], s[14:15]
	s_mov_b32 s6, 0x9037ab78
	s_mov_b32 s7, 0x3e21eeb6
	v_add_f64 v[66:67], v[56:57], 1.0
	v_fma_f64 v[54:55], v[40:41], s[12:13], s[6:7]
	v_fma_f64 v[76:77], v[52:53], s[12:13], s[6:7]
	;; [unrolled: 1-line block ×3, first 2 shown]
	v_add_f64 v[78:79], v[64:65], 1.0
	v_fma_f64 v[92:93], v[60:61], s[12:13], s[6:7]
	v_add_f64 v[96:97], v[70:71], 1.0
	v_fma_f64 v[72:73], v[60:61], v[72:73], s[14:15]
	v_div_scale_f64 v[38:39], null, v[30:31], v[30:31], 0x405b8000
	v_div_scale_f64 v[98:99], vcc_lo, 0x405b8000, v[30:31], 0x405b8000
	v_rsq_f64_e32 v[58:59], v[36:37]
	v_fma_f64 v[46:47], v[40:41], v[46:47], s[18:19]
	v_fma_f64 v[48:49], v[42:43], v[48:49], s[18:19]
	v_add_f64 v[88:89], -v[66:67], 1.0
	v_fma_f64 v[54:55], v[40:41], v[54:55], s[16:17]
	v_fma_f64 v[62:63], v[52:53], v[62:63], s[18:19]
	;; [unrolled: 1-line block ×3, first 2 shown]
	v_add_f64 v[100:101], -v[96:97], 1.0
	v_fma_f64 v[72:73], v[60:61], v[72:73], s[18:19]
	v_rcp_f64_e32 v[44:45], v[38:39]
	v_fma_f64 v[46:47], v[40:41], v[46:47], s[2:3]
	v_mul_f64 v[68:69], v[36:37], v[58:59]
	v_mul_f64 v[58:59], v[58:59], 0.5
	v_fma_f64 v[48:49], v[42:43], v[48:49], s[2:3]
	v_fma_f64 v[54:55], v[40:41], v[54:55], s[0:1]
	v_add_f64 v[56:57], v[88:89], v[56:57]
	v_mul_f64 v[88:89], v[6:7], 0.5
	v_fma_f64 v[62:63], v[52:53], v[62:63], s[2:3]
	v_fma_f64 v[92:93], v[60:61], v[92:93], s[0:1]
	v_add_f64 v[70:71], v[100:101], v[70:71]
	v_fma_f64 v[72:73], v[60:61], v[72:73], s[2:3]
	s_mov_b32 s3, 0xbfc55555
	v_fma_f64 v[50:51], -v[38:39], v[44:45], 1.0
	v_fma_f64 v[46:47], v[84:85], v[46:47], v[80:81]
	v_add_f64 v[80:81], v[90:91], 1.0
	v_fma_f64 v[94:95], -v[58:59], v[68:69], 0.5
	v_fma_f64 v[48:49], v[86:87], v[48:49], v[82:83]
	v_mul_f64 v[82:83], v[4:5], -v[52:53]
	v_fma_f64 v[56:57], v[14:15], -v[22:23], v[56:57]
	v_fma_f64 v[44:45], v[44:45], v[50:51], v[44:45]
	v_fma_f64 v[50:51], v[42:43], s[12:13], s[6:7]
	s_mov_b32 s6, 0x16c16967
	s_mov_b32 s7, 0xbf56c16c
	v_fma_f64 v[22:23], v[40:41], v[46:47], -v[22:23]
	v_fma_f64 v[68:69], v[68:69], v[94:95], v[68:69]
	v_fma_f64 v[54:55], v[40:41], v[54:55], s[6:7]
	;; [unrolled: 1-line block ×3, first 2 shown]
	v_fma_f64 v[48:49], v[42:43], v[48:49], -v[12:13]
	s_mov_b32 s12, 0x55555555
	s_mov_b32 s13, 0x3fa55555
	v_mul_f64 v[94:95], v[24:25], -v[60:61]
	s_mov_b32 s2, s12
	v_fma_f64 v[74:75], -v[38:39], v[44:45], 1.0
	v_fma_f64 v[50:51], v[42:43], v[50:51], s[16:17]
	v_fma_f64 v[22:23], v[84:85], s[2:3], v[22:23]
	v_fma_f64 v[58:59], -v[68:69], v[68:69], v[36:37]
	v_fma_f64 v[54:55], v[40:41], v[54:55], s[12:13]
	v_add_f64 v[40:41], -v[80:81], 1.0
	v_fma_f64 v[48:49], v[86:87], s[2:3], v[48:49]
	v_fma_f64 v[44:45], v[44:45], v[74:75], v[44:45]
	;; [unrolled: 1-line block ×4, first 2 shown]
	v_add_f64 v[76:77], -v[78:79], 1.0
	v_add_f64 v[14:15], v[14:15], -v[22:23]
	v_fma_f64 v[58:59], v[58:59], v[46:47], v[68:69]
	v_fma_f64 v[54:55], v[104:105], v[54:55], v[56:57]
	v_mul_f64 v[56:57], v[52:53], v[52:53]
	v_add_f64 v[40:41], v[40:41], v[90:91]
	v_mul_f64 v[102:103], v[98:99], v[44:45]
	v_fma_f64 v[74:75], v[52:53], v[74:75], s[0:1]
	v_fma_f64 v[50:51], v[42:43], v[50:51], s[6:7]
	v_add_f64 v[64:65], v[76:77], v[64:65]
	v_mul_f64 v[76:77], v[28:29], 0.5
	v_fma_f64 v[22:23], -v[58:59], v[58:59], v[36:37]
	v_cmp_class_f64_e64 s1, s[30:31], 0x1f8
	v_fma_f64 v[40:41], v[24:25], -v[28:29], v[40:41]
	v_fma_f64 v[38:39], -v[38:39], v[102:103], v[98:99]
	v_fma_f64 v[74:75], v[52:53], v[74:75], s[6:7]
	v_fma_f64 v[42:43], v[42:43], v[50:51], s[12:13]
	;; [unrolled: 1-line block ×3, first 2 shown]
	v_fma_f64 v[12:13], v[10:11], -v[12:13], v[64:65]
	v_fma_f64 v[62:63], v[60:61], v[92:93], s[6:7]
	v_fma_f64 v[64:65], v[4:5], -v[6:7], v[70:71]
	v_fma_f64 v[68:69], v[94:95], v[72:73], v[76:77]
	v_add_f64 v[10:11], v[10:11], -v[48:49]
	v_fma_f64 v[22:23], v[22:23], v[46:47], v[58:59]
	s_mov_b32 s6, 0x9fea6a70
	s_mov_b32 s7, 0x3fa05985
	v_div_fmas_f64 v[38:39], v[38:39], v[44:45], v[102:103]
	v_fma_f64 v[44:45], v[52:53], v[74:75], s[12:13]
	v_fma_f64 v[6:7], v[52:53], v[50:51], -v[6:7]
	v_fma_f64 v[12:13], v[106:107], v[42:43], v[12:13]
	v_mul_f64 v[50:51], v[60:61], v[60:61]
	v_fma_f64 v[52:53], v[60:61], v[62:63], s[12:13]
	v_add_f64 v[42:43], v[66:67], v[54:55]
	v_xor_b32_e32 v11, 0x80000000, v11
	v_div_fixup_f64 v[30:31], v[38:39], v[30:31], 0x405b8000
	v_fma_f64 v[38:39], v[56:57], v[44:45], v[64:65]
	v_fma_f64 v[44:45], v[60:61], v[68:69], -v[28:29]
	v_fma_f64 v[6:7], v[82:83], s[2:3], v[6:7]
	v_add_f64 v[12:13], v[78:79], v[12:13]
	v_and_b32_e32 v28, 1, v34
	v_lshlrev_b32_e32 v29, 30, v33
	v_fma_f64 v[40:41], v[50:51], v[52:53], v[40:41]
	v_cmp_eq_u32_e32 vcc_lo, 0, v28
	v_and_b32_e32 v28, 1, v33
	v_and_b32_e32 v33, 0x80000000, v29
	v_cndmask_b32_e32 v14, v14, v42, vcc_lo
	v_cmp_eq_u32_e64 s0, 0, v28
	v_and_b32_e32 v42, 1, v32
	v_lshlrev_b32_e32 v32, 30, v32
	v_fma_f64 v[28:29], v[30:31], v[0:1], 0xc04b8000
	v_add_f64 v[0:1], v[96:97], v[38:39]
	v_fma_f64 v[38:39], v[94:95], s[2:3], v[44:45]
	v_add_f64 v[4:5], v[4:5], -v[6:7]
	v_cndmask_b32_e64 v6, v11, v13, s0
	v_cndmask_b32_e64 v7, v10, v12, s0
	s_cselect_b32 s0, 0xffffff80, 0
	v_cmp_eq_u32_e64 s2, 0, v42
	v_ldexp_f64 v[12:13], v[22:23], s0
	v_xor_b32_e32 v11, v6, v33
	v_cndmask_b32_e64 v10, 0, v7, s1
	v_cmp_class_f64_e64 s0, v[36:37], 0x260
	v_xor_b32_e32 v7, s31, v32
	v_add_f64 v[22:23], v[80:81], v[40:41]
	v_cndmask_b32_e64 v11, 0x7ff80000, v11, s1
	v_fma_f64 v[30:31], v[30:31], v[2:3], 0xc04b8000
	v_cndmask_b32_e64 v6, 0, v14, s1
	v_and_b32_e32 v7, 0x80000000, v7
	v_mul_f64 v[10:11], v[28:29], v[10:11]
	v_add_f64 v[24:25], v[24:25], -v[38:39]
	v_cndmask_b32_e64 v1, v1, v5, s2
	v_cndmask_b32_e64 v0, v0, v4, s2
	s_mov_b32 s2, 0x78a05eaf
	s_mov_b32 s3, 0xbf90a5a3
	v_xor_b32_e32 v1, v1, v7
	v_cndmask_b32_e64 v0, 0, v0, s1
	v_lshlrev_b32_e32 v7, 30, v35
	v_cndmask_b32_e64 v5, v13, v37, s0
	v_cndmask_b32_e64 v4, v12, v36, s0
	;; [unrolled: 1-line block ×3, first 2 shown]
	v_and_b32_e32 v12, 1, v35
	v_xor_b32_e32 v7, s31, v7
	v_cmp_eq_u32_e64 s0, 0, v12
	v_fma_f64 v[0:1], v[4:5], v[0:1], -v[10:11]
	v_and_b32_e32 v4, 0x80000000, v7
	v_cndmask_b32_e64 v7, v23, v25, s0
	v_cndmask_b32_e64 v5, v22, v24, s0
	v_xor_b32_e32 v10, 0x80000000, v15
	v_xor_b32_e32 v7, v7, v4
	v_cndmask_b32_e64 v4, 0, v5, s1
	v_cndmask_b32_e32 v10, v10, v43, vcc_lo
	v_cndmask_b32_e64 v5, 0x7ff80000, v7, s1
	v_lshlrev_b32_e32 v7, 30, v34
	v_mul_f64 v[2:3], v[28:29], v[4:5]
	v_and_b32_e32 v7, 0x80000000, v7
	v_mul_f64 v[4:5], v[0:1], v[0:1]
	v_xor_b32_e32 v7, v10, v7
	v_cndmask_b32_e64 v7, 0x7ff80000, v7, s1
	v_fma_f64 v[6:7], 0x408f4000, v[6:7], v[2:3]
	v_fma_f64 v[2:3], v[30:31], v[30:31], v[4:5]
	v_add_f64 v[4:5], s[8:9], s[8:9]
	buffer_store_dword v4, off, s[100:103], 0 offset:176 ; 4-byte Folded Spill
	buffer_store_dword v5, off, s[100:103], 0 offset:180 ; 4-byte Folded Spill
	v_fma_f64 v[2:3], v[6:7], v[6:7], v[2:3]
	v_fma_f64 v[2:3], -s[8:9], s[8:9], v[2:3]
	v_mul_f64 v[10:11], v[2:3], v[2:3]
	v_mul_f64 v[4:5], v[4:5], v[6:7]
	v_fma_f64 v[4:5], v[4:5], v[4:5], v[10:11]
	v_cmp_gt_f64_e32 vcc_lo, 0x10000000, v[4:5]
	v_cndmask_b32_e64 v10, 0, 0x100, vcc_lo
	v_ldexp_f64 v[4:5], v[4:5], v10
	v_rsq_f64_e32 v[10:11], v[4:5]
	v_mul_f64 v[12:13], v[4:5], v[10:11]
	v_mul_f64 v[10:11], v[10:11], 0.5
	v_fma_f64 v[14:15], -v[10:11], v[12:13], 0.5
	v_fma_f64 v[12:13], v[12:13], v[14:15], v[12:13]
	v_fma_f64 v[10:11], v[10:11], v[14:15], v[10:11]
	v_fma_f64 v[14:15], -v[12:13], v[12:13], v[4:5]
	v_fma_f64 v[12:13], v[14:15], v[10:11], v[12:13]
	v_fma_f64 v[14:15], -v[12:13], v[12:13], v[4:5]
	v_fma_f64 v[10:11], v[14:15], v[10:11], v[12:13]
	v_cndmask_b32_e64 v12, 0, 0xffffff80, vcc_lo
	v_cmp_class_f64_e64 vcc_lo, v[4:5], 0x260
	v_ldexp_f64 v[10:11], v[10:11], v12
	v_cndmask_b32_e32 v5, v11, v5, vcc_lo
	v_cndmask_b32_e32 v4, v10, v4, vcc_lo
	v_add_f64 v[2:3], v[2:3], v[4:5]
	v_mul_f64 v[2:3], v[2:3], 0.5
	v_cmp_gt_f64_e32 vcc_lo, 0x10000000, v[2:3]
	v_cndmask_b32_e64 v4, 0, 0x100, vcc_lo
	v_ldexp_f64 v[2:3], v[2:3], v4
	v_rsq_f64_e32 v[4:5], v[2:3]
	v_mul_f64 v[10:11], v[2:3], v[4:5]
	v_mul_f64 v[4:5], v[4:5], 0.5
	v_fma_f64 v[12:13], -v[4:5], v[10:11], 0.5
	v_fma_f64 v[10:11], v[10:11], v[12:13], v[10:11]
	v_fma_f64 v[4:5], v[4:5], v[12:13], v[4:5]
	v_fma_f64 v[12:13], -v[10:11], v[10:11], v[2:3]
	v_fma_f64 v[10:11], v[12:13], v[4:5], v[10:11]
	v_fma_f64 v[12:13], -v[10:11], v[10:11], v[2:3]
	v_fma_f64 v[4:5], v[12:13], v[4:5], v[10:11]
	v_cndmask_b32_e64 v10, 0, 0xffffff80, vcc_lo
	v_cmp_class_f64_e64 vcc_lo, v[2:3], 0x260
	v_ldexp_f64 v[4:5], v[4:5], v10
	v_cndmask_b32_e32 v113, v5, v3, vcc_lo
	v_cndmask_b32_e32 v112, v4, v2, vcc_lo
	v_div_scale_f64 v[4:5], null, v[112:113], v[112:113], v[6:7]
	v_div_scale_f64 v[14:15], vcc_lo, v[6:7], v[112:113], v[6:7]
	v_rcp_f64_e32 v[10:11], v[4:5]
	v_fma_f64 v[12:13], -v[4:5], v[10:11], 1.0
	v_fma_f64 v[10:11], v[10:11], v[12:13], v[10:11]
	v_fma_f64 v[12:13], -v[4:5], v[10:11], 1.0
	v_fma_f64 v[10:11], v[10:11], v[12:13], v[10:11]
	v_mul_f64 v[12:13], v[14:15], v[10:11]
	v_fma_f64 v[4:5], -v[4:5], v[12:13], v[14:15]
	v_div_fmas_f64 v[4:5], v[4:5], v[10:11], v[12:13]
	v_div_fixup_f64 v[6:7], v[4:5], v[112:113], v[6:7]
	v_fma_f64 v[10:11], |v[6:7]|, -0.5, 0.5
	v_mul_f64 v[4:5], v[6:7], v[6:7]
	v_cmp_ge_f64_e64 vcc_lo, |v[6:7]|, 0.5
	v_cndmask_b32_e32 v5, v5, v11, vcc_lo
	v_cndmask_b32_e32 v4, v4, v10, vcc_lo
	v_fma_f64 v[12:13], v[4:5], s[6:7], s[2:3]
	s_mov_b32 s2, 0x37024d6a
	s_mov_b32 s3, 0x3f940521
	;; [unrolled: 1-line block ×4, first 2 shown]
	v_fma_f64 v[12:13], v[4:5], v[12:13], s[2:3]
	s_mov_b32 s2, 0x98a70509
	s_mov_b32 s3, 0x3f7ab3a0
	v_fma_f64 v[12:13], v[4:5], v[12:13], s[2:3]
	s_mov_b32 s2, 0xa300c8d2
	s_mov_b32 s3, 0x3f88ed60
	;; [unrolled: 3-line block ×10, first 2 shown]
	v_mul_f64 v[12:13], v[4:5], v[12:13]
	v_fma_f64 v[4:5], v[6:7], v[12:13], v[6:7]
	v_fma_f64 v[3:4], s[6:7], s[2:3], -v[4:5]
	s_and_saveexec_b32 s0, vcc_lo
	s_cbranch_execz .LBB0_20
; %bb.19:
	v_rsq_f64_e32 v[4:5], v[10:11]
	v_cmp_eq_f64_e32 vcc_lo, 0, v[10:11]
	s_mov_b32 s7, 0x3ffdd9ad
	v_mul_f64 v[14:15], v[10:11], v[4:5]
	v_mul_f64 v[4:5], v[4:5], 0.5
	v_fma_f64 v[22:23], -v[4:5], v[14:15], 0.5
	v_fma_f64 v[14:15], v[14:15], v[22:23], v[14:15]
	v_fma_f64 v[4:5], v[4:5], v[22:23], v[4:5]
	v_fma_f64 v[22:23], -v[14:15], v[14:15], v[10:11]
	v_fma_f64 v[4:5], v[22:23], v[4:5], v[14:15]
	v_cndmask_b32_e32 v5, v5, v11, vcc_lo
	v_cndmask_b32_e32 v4, v4, v10, vcc_lo
	v_add_f64 v[14:15], v[4:5], v[4:5]
	v_mul_f64 v[22:23], v[4:5], v[4:5]
	v_rcp_f64_e32 v[24:25], v[14:15]
	v_add_f64 v[32:33], v[10:11], -v[22:23]
	v_fma_f64 v[36:37], v[4:5], v[4:5], -v[22:23]
	v_add_f64 v[10:11], v[10:11], -v[32:33]
	v_fma_f64 v[34:35], -v[14:15], v[24:25], 1.0
	v_add_f64 v[10:11], v[10:11], -v[22:23]
	v_fma_f64 v[22:23], v[34:35], v[24:25], v[24:25]
	v_add_f64 v[10:11], v[10:11], -v[36:37]
	v_fma_f64 v[24:25], -v[14:15], v[22:23], 1.0
	v_add_f64 v[10:11], v[32:33], v[10:11]
	v_fma_f64 v[22:23], v[24:25], v[22:23], v[22:23]
	v_mul_f64 v[24:25], v[10:11], v[22:23]
	v_fma_f64 v[10:11], -v[14:15], v[24:25], v[10:11]
	v_fma_f64 v[10:11], v[10:11], v[22:23], v[24:25]
	v_cndmask_b32_e64 v11, v11, 0, vcc_lo
	v_cndmask_b32_e64 v10, v10, 0, vcc_lo
	v_cmp_gt_f64_e32 vcc_lo, 0, v[6:7]
	v_add_f64 v[14:15], v[4:5], v[10:11]
	v_add_f64 v[4:5], v[14:15], -v[4:5]
	v_add_f64 v[4:5], v[10:11], -v[4:5]
	v_fma_f64 v[10:11], v[14:15], v[12:13], v[14:15]
	v_fma_f64 v[4:5], v[14:15], v[12:13], v[4:5]
	v_mul_f64 v[10:11], v[10:11], -2.0
	v_add_f64 v[4:5], v[14:15], v[4:5]
	v_fma_f64 v[10:11], s[6:7], s[2:3], v[10:11]
	v_add_f64 v[4:5], v[4:5], v[4:5]
	v_cndmask_b32_e32 v2, v5, v11, vcc_lo
	v_cndmask_b32_e32 v3, v4, v10, vcc_lo
	v_cmp_neq_f64_e32 vcc_lo, -1.0, v[6:7]
	v_cndmask_b32_e32 v3, 0x54442d18, v3, vcc_lo
	v_cndmask_b32_e32 v2, 0x400921fb, v2, vcc_lo
	v_cmp_neq_f64_e32 vcc_lo, 1.0, v[6:7]
	v_cndmask_b32_e32 v4, 0, v2, vcc_lo
	v_cndmask_b32_e32 v3, 0, v3, vcc_lo
.LBB0_20:
	s_or_b32 exec_lo, exec_lo, s0
	v_cmp_ngt_f64_e64 s6, 0x41d00000, |v[3:4]|
	v_trig_preop_f64 v[54:55], |v[3:4]|, 0
	v_trig_preop_f64 v[52:53], |v[3:4]|, 1
	v_ldexp_f64 v[56:57], |v[3:4]|, 0xffffff80
	v_trig_preop_f64 v[22:23], |v[3:4]|, 2
	v_and_b32_e32 v89, 0x7fffffff, v4
                                        ; implicit-def: $vgpr82
                                        ; implicit-def: $vgpr10_vgpr11
                                        ; implicit-def: $vgpr12_vgpr13
	s_mov_b32 s0, exec_lo
	v_mov_b32_e32 v115, v4
	v_mov_b32_e32 v114, v3
	s_and_b32 s2, s0, s6
	s_xor_b32 s0, s2, s0
	s_mov_b32 exec_lo, s2
	s_cbranch_execz .LBB0_22
; %bb.21:
	v_cmp_le_f64_e64 vcc_lo, 0x7b000000, |v[3:4]|
	v_mov_b32_e32 v42, 0
	s_mov_b32 s2, 0x54442d18
	s_mov_b32 s3, 0x3ff921fb
	;; [unrolled: 1-line block ×4, first 2 shown]
	v_cndmask_b32_e32 v7, v89, v57, vcc_lo
	v_cndmask_b32_e32 v6, v3, v56, vcc_lo
	v_mov_b32_e32 v3, v114
	v_mov_b32_e32 v4, v115
	v_mul_f64 v[10:11], v[54:55], v[6:7]
	v_mul_f64 v[12:13], v[52:53], v[6:7]
	v_mul_f64 v[38:39], v[22:23], v[6:7]
	v_fma_f64 v[14:15], v[54:55], v[6:7], -v[10:11]
	v_fma_f64 v[40:41], v[52:53], v[6:7], -v[12:13]
	;; [unrolled: 1-line block ×3, first 2 shown]
	v_add_f64 v[24:25], v[12:13], v[14:15]
	v_add_f64 v[32:33], v[24:25], -v[12:13]
	v_add_f64 v[36:37], v[10:11], v[24:25]
	v_add_f64 v[34:35], v[24:25], -v[32:33]
	v_add_f64 v[14:15], v[14:15], -v[32:33]
	v_ldexp_f64 v[32:33], v[36:37], -2
	v_add_f64 v[10:11], v[36:37], -v[10:11]
	v_add_f64 v[12:13], v[12:13], -v[34:35]
	v_add_f64 v[34:35], v[38:39], v[40:41]
	v_cmp_neq_f64_e64 vcc_lo, 0x7ff00000, |v[32:33]|
	v_add_f64 v[10:11], v[24:25], -v[10:11]
	v_add_f64 v[12:13], v[14:15], v[12:13]
	v_fract_f64_e32 v[14:15], v[32:33]
	v_add_f64 v[24:25], v[34:35], v[12:13]
	v_ldexp_f64 v[14:15], v[14:15], 2
	v_add_f64 v[32:33], v[10:11], v[24:25]
	v_cndmask_b32_e32 v15, 0, v15, vcc_lo
	v_cndmask_b32_e32 v14, 0, v14, vcc_lo
	v_add_f64 v[36:37], v[32:33], v[14:15]
	v_add_f64 v[10:11], v[32:33], -v[10:11]
	v_cmp_gt_f64_e32 vcc_lo, 0, v[36:37]
	v_add_f64 v[36:37], v[34:35], -v[38:39]
	v_add_f64 v[10:11], v[24:25], -v[10:11]
	v_cndmask_b32_e64 v43, 0, 0x40100000, vcc_lo
	v_add_f64 v[47:48], v[34:35], -v[36:37]
	v_add_f64 v[36:37], v[40:41], -v[36:37]
	v_add_f64 v[14:15], v[14:15], v[42:43]
	v_add_f64 v[43:44], v[24:25], -v[34:35]
	v_add_f64 v[40:41], v[38:39], -v[47:48]
	v_add_f64 v[45:46], v[32:33], v[14:15]
	;; [unrolled: 3-line block ×3, first 2 shown]
	v_cvt_i32_f64_e32 v2, v[45:46]
	v_add_f64 v[34:35], v[34:35], -v[49:50]
	v_cvt_f64_i32_e32 v[43:44], v2
	v_add_f64 v[12:13], v[12:13], v[34:35]
	v_add_f64 v[14:15], v[14:15], -v[43:44]
	v_add_f64 v[12:13], v[36:37], v[12:13]
	v_add_f64 v[34:35], v[32:33], v[14:15]
	v_add_f64 v[6:7], v[6:7], v[12:13]
	v_add_f64 v[12:13], v[34:35], -v[14:15]
	v_cmp_le_f64_e32 vcc_lo, 0.5, v[34:35]
	v_add_f64 v[6:7], v[10:11], v[6:7]
	v_add_f64 v[10:11], v[32:33], -v[12:13]
	v_cndmask_b32_e64 v43, 0, 0x3ff00000, vcc_lo
	v_add_co_ci_u32_e64 v82, null, 0, v2, vcc_lo
	v_add_f64 v[6:7], v[6:7], v[10:11]
	v_add_f64 v[10:11], v[34:35], -v[42:43]
	v_add_f64 v[12:13], v[10:11], v[6:7]
	v_mul_f64 v[14:15], v[12:13], s[2:3]
	v_add_f64 v[10:11], v[12:13], -v[10:11]
	v_fma_f64 v[24:25], v[12:13], s[2:3], -v[14:15]
	v_add_f64 v[6:7], v[6:7], -v[10:11]
	v_fma_f64 v[10:11], v[12:13], s[12:13], v[24:25]
	v_fma_f64 v[6:7], v[6:7], s[2:3], v[10:11]
	v_add_f64 v[10:11], v[14:15], v[6:7]
	v_add_f64 v[12:13], v[10:11], -v[14:15]
	v_add_f64 v[12:13], v[6:7], -v[12:13]
	s_andn2_saveexec_b32 s0, s0
	s_cbranch_execz .LBB0_24
	s_branch .LBB0_23
.LBB0_22:
	s_andn2_saveexec_b32 s0, s0
	s_cbranch_execz .LBB0_24
.LBB0_23:
	s_mov_b32 s2, 0x6dc9c883
	s_mov_b32 s3, 0x3fe45f30
	;; [unrolled: 1-line block ×3, first 2 shown]
	v_mul_f64 v[6:7], |v[3:4]|, s[2:3]
	s_mov_b32 s2, 0x54442d18
	s_mov_b32 s3, 0xbff921fb
	;; [unrolled: 1-line block ×3, first 2 shown]
	v_rndne_f64_e32 v[6:7], v[6:7]
	v_fma_f64 v[10:11], v[6:7], s[2:3], |v[3:4]|
	v_mul_f64 v[12:13], v[6:7], s[12:13]
	s_mov_b32 s2, 0x252049c0
	s_mov_b32 s3, 0xb97b839a
	v_cvt_i32_f64_e32 v82, v[6:7]
	v_fma_f64 v[24:25], v[6:7], s[12:13], v[10:11]
	v_add_f64 v[14:15], v[10:11], v[12:13]
	s_mov_b32 s13, 0x3c91a626
	v_add_f64 v[10:11], v[10:11], -v[14:15]
	v_add_f64 v[14:15], v[14:15], -v[24:25]
	v_add_f64 v[10:11], v[10:11], v[12:13]
	v_fma_f64 v[12:13], v[6:7], s[12:13], v[12:13]
	v_add_f64 v[10:11], v[14:15], v[10:11]
	v_add_f64 v[10:11], v[10:11], -v[12:13]
	v_fma_f64 v[12:13], v[6:7], s[2:3], v[10:11]
	v_add_f64 v[10:11], v[24:25], v[12:13]
	v_add_f64 v[14:15], v[10:11], -v[24:25]
	v_add_f64 v[12:13], v[12:13], -v[14:15]
.LBB0_24:
	s_or_b32 exec_lo, exec_lo, s0
                                        ; implicit-def: $vgpr83
                                        ; implicit-def: $vgpr14_vgpr15
                                        ; implicit-def: $vgpr24_vgpr25
	s_and_saveexec_b32 s0, s6
	s_xor_b32 s0, exec_lo, s0
	s_cbranch_execz .LBB0_28
; %bb.25:
	v_cmp_le_f64_e64 vcc_lo, 0x7b000000, |v[3:4]|
	v_mov_b32_e32 v46, 0
	s_mov_b32 s2, 0x54442d18
	s_mov_b32 s3, 0x3ff921fb
	;; [unrolled: 1-line block ×4, first 2 shown]
	v_cndmask_b32_e32 v7, v89, v57, vcc_lo
	v_cndmask_b32_e32 v6, v3, v56, vcc_lo
	v_mov_b32_e32 v3, v114
	v_mov_b32_e32 v4, v115
	v_mul_f64 v[14:15], v[54:55], v[6:7]
	v_mul_f64 v[24:25], v[52:53], v[6:7]
	;; [unrolled: 1-line block ×3, first 2 shown]
	v_fma_f64 v[32:33], v[54:55], v[6:7], -v[14:15]
	v_fma_f64 v[44:45], v[52:53], v[6:7], -v[24:25]
	;; [unrolled: 1-line block ×3, first 2 shown]
	v_add_f64 v[34:35], v[24:25], v[32:33]
	v_add_f64 v[36:37], v[34:35], -v[24:25]
	v_add_f64 v[40:41], v[14:15], v[34:35]
	v_add_f64 v[38:39], v[34:35], -v[36:37]
	v_add_f64 v[32:33], v[32:33], -v[36:37]
	v_ldexp_f64 v[36:37], v[40:41], -2
	v_add_f64 v[14:15], v[40:41], -v[14:15]
	v_add_f64 v[24:25], v[24:25], -v[38:39]
	v_add_f64 v[38:39], v[42:43], v[44:45]
	v_cmp_neq_f64_e64 vcc_lo, 0x7ff00000, |v[36:37]|
	v_add_f64 v[14:15], v[34:35], -v[14:15]
	v_add_f64 v[24:25], v[32:33], v[24:25]
	v_fract_f64_e32 v[32:33], v[36:37]
	v_add_f64 v[34:35], v[38:39], v[24:25]
	v_ldexp_f64 v[32:33], v[32:33], 2
	v_add_f64 v[36:37], v[14:15], v[34:35]
	v_cndmask_b32_e32 v33, 0, v33, vcc_lo
	v_cndmask_b32_e32 v32, 0, v32, vcc_lo
	v_add_f64 v[40:41], v[36:37], v[32:33]
	v_add_f64 v[14:15], v[36:37], -v[14:15]
	v_cmp_gt_f64_e32 vcc_lo, 0, v[40:41]
	v_add_f64 v[40:41], v[38:39], -v[42:43]
	v_add_f64 v[14:15], v[34:35], -v[14:15]
	v_cndmask_b32_e64 v47, 0, 0x40100000, vcc_lo
	v_add_f64 v[58:59], v[38:39], -v[40:41]
	v_add_f64 v[40:41], v[44:45], -v[40:41]
	v_add_f64 v[32:33], v[32:33], v[46:47]
	v_add_f64 v[47:48], v[34:35], -v[38:39]
	v_add_f64 v[44:45], v[42:43], -v[58:59]
	v_add_f64 v[49:50], v[36:37], v[32:33]
	;; [unrolled: 3-line block ×3, first 2 shown]
	v_cvt_i32_f64_e32 v2, v[49:50]
	v_add_f64 v[38:39], v[38:39], -v[60:61]
	v_cvt_f64_i32_e32 v[47:48], v2
	v_add_f64 v[24:25], v[24:25], v[38:39]
	v_add_f64 v[32:33], v[32:33], -v[47:48]
	v_add_f64 v[24:25], v[40:41], v[24:25]
	v_add_f64 v[38:39], v[36:37], v[32:33]
	;; [unrolled: 1-line block ×3, first 2 shown]
	v_add_f64 v[24:25], v[38:39], -v[32:33]
	v_cmp_le_f64_e32 vcc_lo, 0.5, v[38:39]
	v_add_f64 v[6:7], v[14:15], v[6:7]
	v_add_f64 v[14:15], v[36:37], -v[24:25]
	v_cndmask_b32_e64 v47, 0, 0x3ff00000, vcc_lo
	v_add_co_ci_u32_e64 v83, null, 0, v2, vcc_lo
	v_add_f64 v[6:7], v[6:7], v[14:15]
	v_add_f64 v[14:15], v[38:39], -v[46:47]
	v_add_f64 v[24:25], v[14:15], v[6:7]
	v_mul_f64 v[32:33], v[24:25], s[2:3]
	v_add_f64 v[14:15], v[24:25], -v[14:15]
	v_fma_f64 v[34:35], v[24:25], s[2:3], -v[32:33]
	v_add_f64 v[6:7], v[6:7], -v[14:15]
	v_fma_f64 v[14:15], v[24:25], s[12:13], v[34:35]
	v_fma_f64 v[6:7], v[6:7], s[2:3], v[14:15]
	v_add_f64 v[14:15], v[32:33], v[6:7]
	v_add_f64 v[24:25], v[14:15], -v[32:33]
	v_add_f64 v[24:25], v[6:7], -v[24:25]
	s_andn2_saveexec_b32 s0, s0
	s_cbranch_execnz .LBB0_29
.LBB0_26:
	s_or_b32 exec_lo, exec_lo, s0
	s_and_b32 vcc_lo, exec_lo, s10
	s_cbranch_vccz .LBB0_30
.LBB0_27:
	v_cmp_le_f64_e64 vcc_lo, 0x7b000000, |s[30:31]|
	s_and_b32 s0, s31, 0x7fffffff
	s_mov_b32 s2, 0
	s_mov_b32 s12, 0x54442d18
	s_mov_b32 s13, 0x3ff921fb
	s_mov_b32 s14, 0x33145c07
	s_mov_b32 s15, 0x3c91a626
	v_cndmask_b32_e32 v7, s0, v21, vcc_lo
	v_cndmask_b32_e32 v6, s30, v20, vcc_lo
	v_mul_f64 v[32:33], v[18:19], v[6:7]
	v_mul_f64 v[34:35], v[16:17], v[6:7]
	;; [unrolled: 1-line block ×3, first 2 shown]
	v_fma_f64 v[36:37], v[18:19], v[6:7], -v[32:33]
	v_fma_f64 v[48:49], v[16:17], v[6:7], -v[34:35]
	;; [unrolled: 1-line block ×3, first 2 shown]
	v_add_f64 v[38:39], v[34:35], v[36:37]
	v_add_f64 v[40:41], v[38:39], -v[34:35]
	v_add_f64 v[44:45], v[32:33], v[38:39]
	v_add_f64 v[42:43], v[38:39], -v[40:41]
	v_add_f64 v[36:37], v[36:37], -v[40:41]
	v_ldexp_f64 v[40:41], v[44:45], -2
	v_add_f64 v[32:33], v[44:45], -v[32:33]
	v_add_f64 v[34:35], v[34:35], -v[42:43]
	v_add_f64 v[42:43], v[46:47], v[48:49]
	v_cmp_neq_f64_e64 vcc_lo, 0x7ff00000, |v[40:41]|
	v_add_f64 v[32:33], v[38:39], -v[32:33]
	v_add_f64 v[34:35], v[36:37], v[34:35]
	v_fract_f64_e32 v[36:37], v[40:41]
	v_add_f64 v[38:39], v[42:43], v[34:35]
	v_ldexp_f64 v[36:37], v[36:37], 2
	v_add_f64 v[40:41], v[32:33], v[38:39]
	v_cndmask_b32_e32 v37, 0, v37, vcc_lo
	v_cndmask_b32_e32 v36, 0, v36, vcc_lo
	v_add_f64 v[50:51], v[38:39], -v[42:43]
	v_add_f64 v[44:45], v[40:41], v[36:37]
	v_add_f64 v[32:33], v[40:41], -v[32:33]
	v_add_f64 v[62:63], v[38:39], -v[50:51]
	;; [unrolled: 1-line block ×3, first 2 shown]
	v_cmp_gt_f64_e32 vcc_lo, 0, v[44:45]
	v_add_f64 v[44:45], v[42:43], -v[46:47]
	v_add_f64 v[32:33], v[38:39], -v[32:33]
	s_and_b32 s0, vcc_lo, exec_lo
	s_cselect_b32 s3, 0x40100000, 0
	v_add_f64 v[60:61], v[42:43], -v[44:45]
	v_add_f64 v[36:37], v[36:37], s[2:3]
	v_add_f64 v[44:45], v[48:49], -v[44:45]
	v_add_f64 v[42:43], v[42:43], -v[62:63]
	;; [unrolled: 1-line block ×3, first 2 shown]
	v_add_f64 v[58:59], v[40:41], v[36:37]
	v_add_f64 v[34:35], v[34:35], v[42:43]
	;; [unrolled: 1-line block ×3, first 2 shown]
	v_cvt_i32_f64_e32 v2, v[58:59]
	v_add_f64 v[34:35], v[44:45], v[34:35]
	v_cvt_f64_i32_e32 v[50:51], v2
	v_add_f64 v[6:7], v[6:7], v[34:35]
	v_add_f64 v[36:37], v[36:37], -v[50:51]
	v_add_f64 v[6:7], v[32:33], v[6:7]
	v_add_f64 v[42:43], v[40:41], v[36:37]
	v_add_f64 v[34:35], v[42:43], -v[36:37]
	v_cmp_le_f64_e32 vcc_lo, 0.5, v[42:43]
	v_add_f64 v[32:33], v[40:41], -v[34:35]
	s_and_b32 s0, vcc_lo, exec_lo
	s_cselect_b32 s3, 0x3ff00000, 0
	v_add_co_ci_u32_e64 v87, null, 0, v2, vcc_lo
	v_add_f64 v[6:7], v[6:7], v[32:33]
	v_add_f64 v[32:33], v[42:43], -s[2:3]
	v_add_f64 v[34:35], v[32:33], v[6:7]
	v_mul_f64 v[36:37], v[34:35], s[12:13]
	v_add_f64 v[32:33], v[34:35], -v[32:33]
	v_fma_f64 v[38:39], v[34:35], s[12:13], -v[36:37]
	v_add_f64 v[6:7], v[6:7], -v[32:33]
	v_fma_f64 v[32:33], v[34:35], s[14:15], v[38:39]
	v_fma_f64 v[6:7], v[6:7], s[12:13], v[32:33]
	v_add_f64 v[32:33], v[36:37], v[6:7]
	v_add_f64 v[34:35], v[32:33], -v[36:37]
	v_add_f64 v[46:47], v[6:7], -v[34:35]
	s_cbranch_execz .LBB0_31
	s_branch .LBB0_32
.LBB0_28:
	s_andn2_saveexec_b32 s0, s0
	s_cbranch_execz .LBB0_26
.LBB0_29:
	s_mov_b32 s2, 0x6dc9c883
	s_mov_b32 s3, 0x3fe45f30
	;; [unrolled: 1-line block ×3, first 2 shown]
	v_mul_f64 v[6:7], |v[3:4]|, s[2:3]
	s_mov_b32 s2, 0x54442d18
	s_mov_b32 s3, 0xbff921fb
	;; [unrolled: 1-line block ×3, first 2 shown]
	v_rndne_f64_e32 v[6:7], v[6:7]
	v_fma_f64 v[14:15], v[6:7], s[2:3], |v[3:4]|
	v_mul_f64 v[24:25], v[6:7], s[12:13]
	s_mov_b32 s2, 0x252049c0
	s_mov_b32 s3, 0xb97b839a
	v_cvt_i32_f64_e32 v83, v[6:7]
	v_fma_f64 v[34:35], v[6:7], s[12:13], v[14:15]
	v_add_f64 v[32:33], v[14:15], v[24:25]
	s_mov_b32 s13, 0x3c91a626
	v_add_f64 v[14:15], v[14:15], -v[32:33]
	v_add_f64 v[32:33], v[32:33], -v[34:35]
	v_add_f64 v[14:15], v[14:15], v[24:25]
	v_fma_f64 v[24:25], v[6:7], s[12:13], v[24:25]
	v_add_f64 v[14:15], v[32:33], v[14:15]
	v_add_f64 v[14:15], v[14:15], -v[24:25]
	v_fma_f64 v[24:25], v[6:7], s[2:3], v[14:15]
	v_add_f64 v[14:15], v[34:35], v[24:25]
	v_add_f64 v[32:33], v[14:15], -v[34:35]
	v_add_f64 v[24:25], v[24:25], -v[32:33]
	s_or_b32 exec_lo, exec_lo, s0
	s_and_b32 vcc_lo, exec_lo, s10
	s_cbranch_vccnz .LBB0_27
.LBB0_30:
                                        ; implicit-def: $vgpr87
                                        ; implicit-def: $vgpr32_vgpr33
                                        ; implicit-def: $vgpr46_vgpr47
.LBB0_31:
	s_mov_b32 s2, 0x6dc9c883
	s_mov_b32 s3, 0x3fe45f30
	;; [unrolled: 1-line block ×3, first 2 shown]
	v_mul_f64 v[6:7], |s[30:31]|, s[2:3]
	s_mov_b32 s2, 0x54442d18
	s_mov_b32 s3, 0xbff921fb
	;; [unrolled: 1-line block ×3, first 2 shown]
	v_rndne_f64_e32 v[6:7], v[6:7]
	v_fma_f64 v[32:33], v[6:7], s[2:3], |s[30:31]|
	v_mul_f64 v[34:35], v[6:7], s[12:13]
	s_mov_b32 s2, 0x252049c0
	s_mov_b32 s3, 0xb97b839a
	v_cvt_i32_f64_e32 v87, v[6:7]
	v_fma_f64 v[38:39], v[6:7], s[12:13], v[32:33]
	v_add_f64 v[36:37], v[32:33], v[34:35]
	s_mov_b32 s13, 0x3c91a626
	v_add_f64 v[32:33], v[32:33], -v[36:37]
	v_add_f64 v[36:37], v[36:37], -v[38:39]
	v_add_f64 v[32:33], v[32:33], v[34:35]
	v_fma_f64 v[34:35], v[6:7], s[12:13], v[34:35]
	v_add_f64 v[32:33], v[36:37], v[32:33]
	v_add_f64 v[32:33], v[32:33], -v[34:35]
	v_fma_f64 v[34:35], v[6:7], s[2:3], v[32:33]
	v_add_f64 v[32:33], v[38:39], v[34:35]
	v_add_f64 v[36:37], v[32:33], -v[38:39]
	v_add_f64 v[46:47], v[34:35], -v[36:37]
.LBB0_32:
	v_max_f64 v[6:7], |v[30:31]|, |v[30:31]|
	v_max_f64 v[34:35], |v[0:1]|, |v[0:1]|
	s_mov_b32 s2, 0xbd3237f4
	s_mov_b32 s12, 0xb5e68a13
	;; [unrolled: 1-line block ×4, first 2 shown]
	v_cmp_eq_f64_e64 s0, 0, v[30:31]
	v_cmp_class_f64_e64 s7, v[30:31], 0x204
	v_cmp_class_f64_e64 s11, v[0:1], 0x204
	v_ashrrev_i32_e32 v3, 31, v1
	v_mov_b32_e32 v2, 0x7f3321d2
                                        ; implicit-def: $vgpr88
                                        ; implicit-def: $vgpr48_vgpr49
                                        ; implicit-def: $vgpr50_vgpr51
	v_and_b32_e32 v4, 0x400921fb, v3
	v_and_b32_e32 v3, 0x54442d18, v3
	v_max_f64 v[36:37], v[34:35], v[6:7]
	v_min_f64 v[6:7], v[34:35], v[6:7]
	v_div_scale_f64 v[34:35], null, v[36:37], v[36:37], v[6:7]
	v_div_scale_f64 v[42:43], vcc_lo, v[6:7], v[36:37], v[6:7]
	v_rcp_f64_e32 v[38:39], v[34:35]
	v_fma_f64 v[40:41], -v[34:35], v[38:39], 1.0
	v_fma_f64 v[38:39], v[38:39], v[40:41], v[38:39]
	v_fma_f64 v[40:41], -v[34:35], v[38:39], 1.0
	v_fma_f64 v[38:39], v[38:39], v[40:41], v[38:39]
	v_mul_f64 v[40:41], v[42:43], v[38:39]
	v_fma_f64 v[34:35], -v[34:35], v[40:41], v[42:43]
	v_div_fmas_f64 v[34:35], v[34:35], v[38:39], v[40:41]
	v_cmp_lt_f64_e64 vcc_lo, |v[0:1]|, |v[30:31]|
	v_div_fixup_f64 v[6:7], v[34:35], v[36:37], v[6:7]
	v_mul_f64 v[34:35], v[6:7], v[6:7]
	v_fma_f64 v[36:37], v[34:35], s[12:13], s[2:3]
	s_mov_b32 s2, 0x69efb384
	s_mov_b32 s3, 0x3f4b2bb0
	;; [unrolled: 1-line block ×3, first 2 shown]
	v_fma_f64 v[36:37], v[34:35], v[36:37], s[2:3]
	s_mov_b32 s2, 0xaf56de9b
	s_mov_b32 s3, 0xbf67952d
	v_fma_f64 v[36:37], v[34:35], v[36:37], s[2:3]
	s_mov_b32 s2, 0xa595c56f
	s_mov_b32 s3, 0x3f7d6d43
	;; [unrolled: 3-line block ×18, first 2 shown]
	s_mov_b32 s12, s2
	v_mul_f64 v[34:35], v[34:35], v[36:37]
	v_fma_f64 v[6:7], v[6:7], v[34:35], v[6:7]
	v_add_f64 v[34:35], -v[6:7], s[2:3]
	v_cndmask_b32_e32 v7, v7, v35, vcc_lo
	v_cndmask_b32_e32 v6, v6, v34, vcc_lo
	v_cmp_gt_i32_e32 vcc_lo, 0, v1
	v_add_f64 v[34:35], -v[6:7], s[12:13]
	v_cndmask_b32_e32 v2, 0x54442d18, v2, vcc_lo
	v_cndmask_b32_e32 v5, v7, v35, vcc_lo
	v_mov_b32_e32 v7, 0x4002d97c
	v_cndmask_b32_e32 v6, v6, v34, vcc_lo
	v_cndmask_b32_e64 v4, v5, v4, s0
	v_cndmask_b32_e32 v7, 0x3fe921fb, v7, vcc_lo
	v_cndmask_b32_e64 v3, v6, v3, s0
	s_and_b32 vcc_lo, s7, s11
	v_bfi_b32 v5, 0x7fffffff, v7, v31
	v_cndmask_b32_e32 v2, v3, v2, vcc_lo
	v_cndmask_b32_e32 v3, v4, v5, vcc_lo
	v_cmp_o_f64_e32 vcc_lo, v[0:1], v[30:31]
	v_cndmask_b32_e32 v3, 0x7ff80000, v3, vcc_lo
	v_cndmask_b32_e32 v2, 0, v2, vcc_lo
	v_mov_b32_e32 v5, v3
	v_cmp_ngt_f64_e64 s0, 0x41d00000, |v[2:3]|
	v_trig_preop_f64 v[72:73], |v[2:3]|, 0
	v_trig_preop_f64 v[70:71], |v[2:3]|, 1
	v_ldexp_f64 v[74:75], |v[2:3]|, 0xffffff80
	v_trig_preop_f64 v[0:1], |v[2:3]|, 2
	v_mov_b32_e32 v4, v2
	v_and_b32_e32 v6, 0x7fffffff, v3
	s_and_saveexec_b32 s7, s0
	s_xor_b32 s7, exec_lo, s7
	s_cbranch_execz .LBB0_36
; %bb.33:
	v_mov_b32_e32 v2, v4
	v_mov_b32_e32 v3, v5
	;; [unrolled: 1-line block ×3, first 2 shown]
	s_mov_b32 s12, 0x33145c07
	s_mov_b32 s13, 0x3c91a626
	v_cmp_le_f64_e64 vcc_lo, 0x7b000000, |v[2:3]|
	v_cndmask_b32_e32 v35, v6, v75, vcc_lo
	v_cndmask_b32_e32 v34, v2, v74, vcc_lo
	v_mul_f64 v[36:37], v[72:73], v[34:35]
	v_mul_f64 v[38:39], v[70:71], v[34:35]
	;; [unrolled: 1-line block ×3, first 2 shown]
	v_fma_f64 v[40:41], v[72:73], v[34:35], -v[36:37]
	v_fma_f64 v[60:61], v[70:71], v[34:35], -v[38:39]
	;; [unrolled: 1-line block ×3, first 2 shown]
	v_add_f64 v[42:43], v[38:39], v[40:41]
	v_add_f64 v[44:45], v[42:43], -v[38:39]
	v_add_f64 v[50:51], v[36:37], v[42:43]
	v_add_f64 v[48:49], v[42:43], -v[44:45]
	v_add_f64 v[40:41], v[40:41], -v[44:45]
	v_ldexp_f64 v[44:45], v[50:51], -2
	v_add_f64 v[36:37], v[50:51], -v[36:37]
	v_add_f64 v[38:39], v[38:39], -v[48:49]
	v_add_f64 v[48:49], v[58:59], v[60:61]
	v_cmp_neq_f64_e64 vcc_lo, 0x7ff00000, |v[44:45]|
	v_add_f64 v[36:37], v[42:43], -v[36:37]
	v_add_f64 v[38:39], v[40:41], v[38:39]
	v_fract_f64_e32 v[40:41], v[44:45]
	v_add_f64 v[42:43], v[48:49], v[38:39]
	v_ldexp_f64 v[40:41], v[40:41], 2
	v_add_f64 v[44:45], v[36:37], v[42:43]
	v_cndmask_b32_e32 v41, 0, v41, vcc_lo
	v_cndmask_b32_e32 v40, 0, v40, vcc_lo
	v_add_f64 v[50:51], v[44:45], v[40:41]
	v_add_f64 v[36:37], v[44:45], -v[36:37]
	v_cmp_gt_f64_e32 vcc_lo, 0, v[50:51]
	v_add_f64 v[50:51], v[48:49], -v[58:59]
	v_add_f64 v[36:37], v[42:43], -v[36:37]
	v_cndmask_b32_e64 v63, 0, 0x40100000, vcc_lo
	v_add_f64 v[67:68], v[48:49], -v[50:51]
	v_add_f64 v[50:51], v[60:61], -v[50:51]
	v_add_f64 v[40:41], v[40:41], v[62:63]
	v_add_f64 v[63:64], v[42:43], -v[48:49]
	v_add_f64 v[60:61], v[58:59], -v[67:68]
	v_add_f64 v[65:66], v[44:45], v[40:41]
	;; [unrolled: 3-line block ×3, first 2 shown]
	v_cvt_i32_f64_e32 v2, v[65:66]
	v_add_f64 v[48:49], v[48:49], -v[76:77]
	v_cvt_f64_i32_e32 v[63:64], v2
	v_add_f64 v[38:39], v[38:39], v[48:49]
	v_add_f64 v[40:41], v[40:41], -v[63:64]
	v_add_f64 v[38:39], v[50:51], v[38:39]
	v_add_f64 v[48:49], v[44:45], v[40:41]
	;; [unrolled: 1-line block ×3, first 2 shown]
	v_add_f64 v[38:39], v[48:49], -v[40:41]
	v_cmp_le_f64_e32 vcc_lo, 0.5, v[48:49]
	v_add_f64 v[34:35], v[36:37], v[34:35]
	v_add_f64 v[36:37], v[44:45], -v[38:39]
	v_cndmask_b32_e64 v63, 0, 0x3ff00000, vcc_lo
	v_add_co_ci_u32_e64 v88, null, 0, v2, vcc_lo
	v_add_f64 v[34:35], v[34:35], v[36:37]
	v_add_f64 v[36:37], v[48:49], -v[62:63]
	v_add_f64 v[38:39], v[36:37], v[34:35]
	v_mul_f64 v[40:41], v[38:39], s[2:3]
	v_add_f64 v[36:37], v[38:39], -v[36:37]
	v_fma_f64 v[42:43], v[38:39], s[2:3], -v[40:41]
	v_add_f64 v[34:35], v[34:35], -v[36:37]
	v_fma_f64 v[36:37], v[38:39], s[12:13], v[42:43]
	v_fma_f64 v[34:35], v[34:35], s[2:3], v[36:37]
	v_add_f64 v[48:49], v[40:41], v[34:35]
	v_add_f64 v[36:37], v[48:49], -v[40:41]
	v_add_f64 v[50:51], v[34:35], -v[36:37]
	s_andn2_saveexec_b32 s2, s7
	s_cbranch_execnz .LBB0_37
.LBB0_34:
	s_or_b32 exec_lo, exec_lo, s2
	s_and_b32 vcc_lo, exec_lo, s10
	s_cbranch_vccz .LBB0_38
.LBB0_35:
	v_cmp_le_f64_e64 vcc_lo, 0x7b000000, |s[30:31]|
	s_and_b32 s2, s31, 0x7fffffff
	s_mov_b32 s12, 0x54442d18
	s_mov_b32 s13, 0x3ff921fb
	s_mov_b32 s14, 0x33145c07
	s_mov_b32 s15, 0x3c91a626
	v_cndmask_b32_e32 v35, s2, v21, vcc_lo
	v_cndmask_b32_e32 v34, s30, v20, vcc_lo
	s_mov_b32 s2, 0
	v_mul_f64 v[36:37], v[18:19], v[34:35]
	v_mul_f64 v[38:39], v[16:17], v[34:35]
	;; [unrolled: 1-line block ×3, first 2 shown]
	v_fma_f64 v[40:41], v[18:19], v[34:35], -v[36:37]
	v_fma_f64 v[64:65], v[16:17], v[34:35], -v[38:39]
	;; [unrolled: 1-line block ×3, first 2 shown]
	v_add_f64 v[42:43], v[38:39], v[40:41]
	v_add_f64 v[44:45], v[42:43], -v[38:39]
	v_add_f64 v[60:61], v[36:37], v[42:43]
	v_add_f64 v[58:59], v[42:43], -v[44:45]
	v_add_f64 v[40:41], v[40:41], -v[44:45]
	v_ldexp_f64 v[44:45], v[60:61], -2
	v_add_f64 v[36:37], v[60:61], -v[36:37]
	v_add_f64 v[38:39], v[38:39], -v[58:59]
	v_add_f64 v[58:59], v[62:63], v[64:65]
	v_cmp_neq_f64_e64 vcc_lo, 0x7ff00000, |v[44:45]|
	v_add_f64 v[36:37], v[42:43], -v[36:37]
	v_add_f64 v[38:39], v[40:41], v[38:39]
	v_fract_f64_e32 v[40:41], v[44:45]
	v_add_f64 v[42:43], v[58:59], v[38:39]
	v_ldexp_f64 v[40:41], v[40:41], 2
	v_add_f64 v[44:45], v[36:37], v[42:43]
	v_cndmask_b32_e32 v41, 0, v41, vcc_lo
	v_cndmask_b32_e32 v40, 0, v40, vcc_lo
	v_add_f64 v[66:67], v[42:43], -v[58:59]
	v_add_f64 v[60:61], v[44:45], v[40:41]
	v_add_f64 v[36:37], v[44:45], -v[36:37]
	v_add_f64 v[78:79], v[42:43], -v[66:67]
	;; [unrolled: 1-line block ×3, first 2 shown]
	v_cmp_gt_f64_e32 vcc_lo, 0, v[60:61]
	v_add_f64 v[60:61], v[58:59], -v[62:63]
	v_add_f64 v[36:37], v[42:43], -v[36:37]
	s_and_b32 s3, vcc_lo, exec_lo
	s_cselect_b32 s3, 0x40100000, 0
	v_add_f64 v[76:77], v[58:59], -v[60:61]
	v_add_f64 v[40:41], v[40:41], s[2:3]
	v_add_f64 v[60:61], v[64:65], -v[60:61]
	v_add_f64 v[58:59], v[58:59], -v[78:79]
	;; [unrolled: 1-line block ×3, first 2 shown]
	v_add_f64 v[68:69], v[44:45], v[40:41]
	v_add_f64 v[38:39], v[38:39], v[58:59]
	;; [unrolled: 1-line block ×3, first 2 shown]
	v_cvt_i32_f64_e32 v2, v[68:69]
	v_add_f64 v[38:39], v[60:61], v[38:39]
	v_cvt_f64_i32_e32 v[66:67], v2
	v_add_f64 v[34:35], v[34:35], v[38:39]
	v_add_f64 v[40:41], v[40:41], -v[66:67]
	v_add_f64 v[34:35], v[36:37], v[34:35]
	v_add_f64 v[58:59], v[44:45], v[40:41]
	v_add_f64 v[38:39], v[58:59], -v[40:41]
	v_cmp_le_f64_e32 vcc_lo, 0.5, v[58:59]
	v_add_f64 v[36:37], v[44:45], -v[38:39]
	s_and_b32 s3, vcc_lo, exec_lo
	s_cselect_b32 s3, 0x3ff00000, 0
	v_add_co_ci_u32_e64 v85, null, 0, v2, vcc_lo
	v_add_f64 v[34:35], v[34:35], v[36:37]
	v_add_f64 v[36:37], v[58:59], -s[2:3]
	v_add_f64 v[38:39], v[36:37], v[34:35]
	v_mul_f64 v[40:41], v[38:39], s[12:13]
	v_add_f64 v[36:37], v[38:39], -v[36:37]
	v_fma_f64 v[42:43], v[38:39], s[12:13], -v[40:41]
	v_add_f64 v[34:35], v[34:35], -v[36:37]
	v_fma_f64 v[36:37], v[38:39], s[14:15], v[42:43]
	v_fma_f64 v[34:35], v[34:35], s[12:13], v[36:37]
	v_add_f64 v[36:37], v[40:41], v[34:35]
	v_add_f64 v[38:39], v[36:37], -v[40:41]
	v_add_f64 v[38:39], v[34:35], -v[38:39]
	s_cbranch_execz .LBB0_39
	s_branch .LBB0_40
.LBB0_36:
	s_andn2_saveexec_b32 s2, s7
	s_cbranch_execz .LBB0_34
.LBB0_37:
	v_mov_b32_e32 v2, v4
	v_mov_b32_e32 v3, v5
	s_mov_b32 s12, 0x6dc9c883
	s_mov_b32 s13, 0x3fe45f30
	;; [unrolled: 1-line block ×4, first 2 shown]
	v_mul_f64 v[34:35], |v[2:3]|, s[12:13]
	s_mov_b32 s12, 0x54442d18
	s_mov_b32 s13, 0xbff921fb
	v_rndne_f64_e32 v[34:35], v[34:35]
	v_fma_f64 v[36:37], v[34:35], s[12:13], |v[2:3]|
	v_mul_f64 v[38:39], v[34:35], s[14:15]
	s_mov_b32 s12, 0x252049c0
	s_mov_b32 s13, 0xb97b839a
	v_cvt_i32_f64_e32 v88, v[34:35]
	v_fma_f64 v[42:43], v[34:35], s[14:15], v[36:37]
	v_add_f64 v[40:41], v[36:37], v[38:39]
	s_mov_b32 s15, 0x3c91a626
	v_add_f64 v[36:37], v[36:37], -v[40:41]
	v_add_f64 v[40:41], v[40:41], -v[42:43]
	v_add_f64 v[36:37], v[36:37], v[38:39]
	v_fma_f64 v[38:39], v[34:35], s[14:15], v[38:39]
	v_add_f64 v[36:37], v[40:41], v[36:37]
	v_add_f64 v[36:37], v[36:37], -v[38:39]
	v_fma_f64 v[36:37], v[34:35], s[12:13], v[36:37]
	v_add_f64 v[48:49], v[42:43], v[36:37]
	v_add_f64 v[38:39], v[48:49], -v[42:43]
	v_add_f64 v[50:51], v[36:37], -v[38:39]
	s_or_b32 exec_lo, exec_lo, s2
	s_and_b32 vcc_lo, exec_lo, s10
	s_cbranch_vccnz .LBB0_35
.LBB0_38:
                                        ; implicit-def: $vgpr85
                                        ; implicit-def: $vgpr36_vgpr37
                                        ; implicit-def: $vgpr38_vgpr39
.LBB0_39:
	s_mov_b32 s2, 0x6dc9c883
	s_mov_b32 s3, 0x3fe45f30
	;; [unrolled: 1-line block ×3, first 2 shown]
	v_mul_f64 v[34:35], |s[30:31]|, s[2:3]
	s_mov_b32 s2, 0x54442d18
	s_mov_b32 s3, 0xbff921fb
	;; [unrolled: 1-line block ×3, first 2 shown]
	v_rndne_f64_e32 v[34:35], v[34:35]
	v_fma_f64 v[36:37], v[34:35], s[2:3], |s[30:31]|
	v_mul_f64 v[38:39], v[34:35], s[12:13]
	s_mov_b32 s2, 0x252049c0
	s_mov_b32 s3, 0xb97b839a
	v_cvt_i32_f64_e32 v85, v[34:35]
	v_fma_f64 v[42:43], v[34:35], s[12:13], v[36:37]
	v_add_f64 v[40:41], v[36:37], v[38:39]
	s_mov_b32 s13, 0x3c91a626
	v_add_f64 v[36:37], v[36:37], -v[40:41]
	v_add_f64 v[40:41], v[40:41], -v[42:43]
	v_add_f64 v[36:37], v[36:37], v[38:39]
	v_fma_f64 v[38:39], v[34:35], s[12:13], v[38:39]
	v_add_f64 v[36:37], v[40:41], v[36:37]
	v_add_f64 v[36:37], v[36:37], -v[38:39]
	v_fma_f64 v[38:39], v[34:35], s[2:3], v[36:37]
	v_add_f64 v[36:37], v[42:43], v[38:39]
	v_add_f64 v[40:41], v[36:37], -v[42:43]
	v_add_f64 v[38:39], v[38:39], -v[40:41]
.LBB0_40:
                                        ; implicit-def: $vgpr86
                                        ; implicit-def: $vgpr40_vgpr41
                                        ; implicit-def: $vgpr42_vgpr43
	s_and_saveexec_b32 s2, s6
	s_xor_b32 s2, exec_lo, s2
	s_cbranch_execz .LBB0_42
; %bb.41:
	v_mov_b32_e32 v2, v114
	v_mov_b32_e32 v3, v115
	;; [unrolled: 1-line block ×3, first 2 shown]
	s_mov_b32 s12, 0x54442d18
	s_mov_b32 s13, 0x3ff921fb
	;; [unrolled: 1-line block ×3, first 2 shown]
	v_cmp_le_f64_e64 vcc_lo, 0x7b000000, |v[2:3]|
	s_mov_b32 s15, 0x3c91a626
	v_cndmask_b32_e32 v35, v89, v57, vcc_lo
	v_cndmask_b32_e32 v34, v2, v56, vcc_lo
	v_mul_f64 v[40:41], v[54:55], v[34:35]
	v_mul_f64 v[42:43], v[52:53], v[34:35]
	;; [unrolled: 1-line block ×3, first 2 shown]
	v_fma_f64 v[44:45], v[54:55], v[34:35], -v[40:41]
	v_fma_f64 v[68:69], v[52:53], v[34:35], -v[42:43]
	;; [unrolled: 1-line block ×3, first 2 shown]
	v_add_f64 v[58:59], v[42:43], v[44:45]
	v_add_f64 v[60:61], v[58:59], -v[42:43]
	v_add_f64 v[64:65], v[40:41], v[58:59]
	v_add_f64 v[62:63], v[58:59], -v[60:61]
	v_add_f64 v[44:45], v[44:45], -v[60:61]
	v_ldexp_f64 v[60:61], v[64:65], -2
	v_add_f64 v[40:41], v[64:65], -v[40:41]
	v_add_f64 v[42:43], v[42:43], -v[62:63]
	v_add_f64 v[62:63], v[66:67], v[68:69]
	v_cmp_neq_f64_e64 vcc_lo, 0x7ff00000, |v[60:61]|
	v_add_f64 v[40:41], v[58:59], -v[40:41]
	v_add_f64 v[42:43], v[44:45], v[42:43]
	v_fract_f64_e32 v[44:45], v[60:61]
	v_add_f64 v[58:59], v[62:63], v[42:43]
	v_ldexp_f64 v[44:45], v[44:45], 2
	v_add_f64 v[60:61], v[40:41], v[58:59]
	v_cndmask_b32_e32 v45, 0, v45, vcc_lo
	v_cndmask_b32_e32 v44, 0, v44, vcc_lo
	v_add_f64 v[64:65], v[60:61], v[44:45]
	v_add_f64 v[40:41], v[60:61], -v[40:41]
	v_cmp_gt_f64_e32 vcc_lo, 0, v[64:65]
	v_add_f64 v[64:65], v[62:63], -v[66:67]
	v_add_f64 v[40:41], v[58:59], -v[40:41]
	v_cndmask_b32_e64 v77, 0, 0x40100000, vcc_lo
	v_add_f64 v[90:91], v[62:63], -v[64:65]
	v_add_f64 v[64:65], v[68:69], -v[64:65]
	v_add_f64 v[44:45], v[44:45], v[76:77]
	v_add_f64 v[77:78], v[58:59], -v[62:63]
	v_add_f64 v[68:69], v[66:67], -v[90:91]
	v_add_f64 v[79:80], v[60:61], v[44:45]
	;; [unrolled: 3-line block ×3, first 2 shown]
	v_cvt_i32_f64_e32 v2, v[79:80]
	v_add_f64 v[62:63], v[62:63], -v[92:93]
	v_cvt_f64_i32_e32 v[77:78], v2
	v_add_f64 v[42:43], v[42:43], v[62:63]
	v_add_f64 v[44:45], v[44:45], -v[77:78]
	v_add_f64 v[42:43], v[64:65], v[42:43]
	v_add_f64 v[62:63], v[60:61], v[44:45]
	;; [unrolled: 1-line block ×3, first 2 shown]
	v_add_f64 v[42:43], v[62:63], -v[44:45]
	v_cmp_le_f64_e32 vcc_lo, 0.5, v[62:63]
	v_add_f64 v[34:35], v[40:41], v[34:35]
	v_add_f64 v[40:41], v[60:61], -v[42:43]
	v_cndmask_b32_e64 v77, 0, 0x3ff00000, vcc_lo
	v_add_co_ci_u32_e64 v86, null, 0, v2, vcc_lo
	v_add_f64 v[34:35], v[34:35], v[40:41]
	v_add_f64 v[40:41], v[62:63], -v[76:77]
	v_add_f64 v[42:43], v[40:41], v[34:35]
	v_mul_f64 v[44:45], v[42:43], s[12:13]
	v_add_f64 v[40:41], v[42:43], -v[40:41]
	v_fma_f64 v[58:59], v[42:43], s[12:13], -v[44:45]
	v_add_f64 v[34:35], v[34:35], -v[40:41]
	v_fma_f64 v[40:41], v[42:43], s[14:15], v[58:59]
	v_fma_f64 v[34:35], v[34:35], s[12:13], v[40:41]
	v_add_f64 v[40:41], v[44:45], v[34:35]
	v_add_f64 v[42:43], v[40:41], -v[44:45]
	v_add_f64 v[42:43], v[34:35], -v[42:43]
	s_andn2_saveexec_b32 s2, s2
	s_cbranch_execz .LBB0_44
	s_branch .LBB0_43
.LBB0_42:
	s_andn2_saveexec_b32 s2, s2
	s_cbranch_execz .LBB0_44
.LBB0_43:
	v_mov_b32_e32 v2, v114
	v_mov_b32_e32 v3, v115
	s_mov_b32 s12, 0x6dc9c883
	s_mov_b32 s13, 0x3fe45f30
	;; [unrolled: 1-line block ×4, first 2 shown]
	v_mul_f64 v[34:35], |v[2:3]|, s[12:13]
	s_mov_b32 s12, 0x54442d18
	s_mov_b32 s13, 0xbff921fb
	v_rndne_f64_e32 v[34:35], v[34:35]
	v_fma_f64 v[40:41], v[34:35], s[12:13], |v[2:3]|
	v_mul_f64 v[42:43], v[34:35], s[14:15]
	s_mov_b32 s12, 0x252049c0
	s_mov_b32 s13, 0xb97b839a
	v_cvt_i32_f64_e32 v86, v[34:35]
	v_fma_f64 v[58:59], v[34:35], s[14:15], v[40:41]
	v_add_f64 v[44:45], v[40:41], v[42:43]
	s_mov_b32 s15, 0x3c91a626
	v_add_f64 v[40:41], v[40:41], -v[44:45]
	v_add_f64 v[44:45], v[44:45], -v[58:59]
	v_add_f64 v[40:41], v[40:41], v[42:43]
	v_fma_f64 v[42:43], v[34:35], s[14:15], v[42:43]
	v_add_f64 v[40:41], v[44:45], v[40:41]
	v_add_f64 v[40:41], v[40:41], -v[42:43]
	v_fma_f64 v[42:43], v[34:35], s[12:13], v[40:41]
	v_add_f64 v[40:41], v[58:59], v[42:43]
	v_add_f64 v[44:45], v[40:41], -v[58:59]
	v_add_f64 v[42:43], v[42:43], -v[44:45]
.LBB0_44:
	s_or_b32 exec_lo, exec_lo, s2
                                        ; implicit-def: $vgpr84
                                        ; implicit-def: $vgpr34_vgpr35
                                        ; implicit-def: $vgpr44_vgpr45
	s_and_saveexec_b32 s2, s6
	s_xor_b32 s2, exec_lo, s2
	s_cbranch_execz .LBB0_48
; %bb.45:
	v_mov_b32_e32 v2, v114
	v_mov_b32_e32 v3, v115
	;; [unrolled: 1-line block ×3, first 2 shown]
	s_mov_b32 s12, 0x54442d18
	s_mov_b32 s13, 0x3ff921fb
	;; [unrolled: 1-line block ×3, first 2 shown]
	v_cmp_le_f64_e64 vcc_lo, 0x7b000000, |v[2:3]|
	s_mov_b32 s15, 0x3c91a626
	v_cndmask_b32_e32 v35, v89, v57, vcc_lo
	v_cndmask_b32_e32 v34, v2, v56, vcc_lo
	v_mul_f64 v[44:45], v[54:55], v[34:35]
	v_mul_f64 v[58:59], v[52:53], v[34:35]
	;; [unrolled: 1-line block ×3, first 2 shown]
	v_fma_f64 v[60:61], v[54:55], v[34:35], -v[44:45]
	v_fma_f64 v[78:79], v[52:53], v[34:35], -v[58:59]
	;; [unrolled: 1-line block ×3, first 2 shown]
	v_add_f64 v[62:63], v[58:59], v[60:61]
	v_add_f64 v[64:65], v[62:63], -v[58:59]
	v_add_f64 v[68:69], v[44:45], v[62:63]
	v_add_f64 v[66:67], v[62:63], -v[64:65]
	v_add_f64 v[60:61], v[60:61], -v[64:65]
	v_ldexp_f64 v[64:65], v[68:69], -2
	v_add_f64 v[44:45], v[68:69], -v[44:45]
	v_add_f64 v[58:59], v[58:59], -v[66:67]
	v_add_f64 v[66:67], v[76:77], v[78:79]
	v_cmp_neq_f64_e64 vcc_lo, 0x7ff00000, |v[64:65]|
	v_add_f64 v[44:45], v[62:63], -v[44:45]
	v_add_f64 v[58:59], v[60:61], v[58:59]
	v_fract_f64_e32 v[60:61], v[64:65]
	v_add_f64 v[62:63], v[66:67], v[58:59]
	v_ldexp_f64 v[60:61], v[60:61], 2
	v_add_f64 v[64:65], v[44:45], v[62:63]
	v_cndmask_b32_e32 v61, 0, v61, vcc_lo
	v_cndmask_b32_e32 v60, 0, v60, vcc_lo
	v_add_f64 v[90:91], v[62:63], -v[66:67]
	v_add_f64 v[68:69], v[64:65], v[60:61]
	v_add_f64 v[44:45], v[64:65], -v[44:45]
	v_add_f64 v[96:97], v[62:63], -v[90:91]
	;; [unrolled: 1-line block ×3, first 2 shown]
	v_cmp_gt_f64_e32 vcc_lo, 0, v[68:69]
	v_add_f64 v[68:69], v[66:67], -v[76:77]
	v_add_f64 v[44:45], v[62:63], -v[44:45]
	v_cndmask_b32_e64 v81, 0, 0x40100000, vcc_lo
	v_add_f64 v[94:95], v[66:67], -v[68:69]
	v_add_f64 v[68:69], v[78:79], -v[68:69]
	;; [unrolled: 1-line block ×3, first 2 shown]
	v_add_f64 v[60:61], v[60:61], v[80:81]
	v_add_f64 v[78:79], v[76:77], -v[94:95]
	v_add_f64 v[58:59], v[58:59], v[66:67]
	v_add_f64 v[92:93], v[64:65], v[60:61]
	;; [unrolled: 1-line block ×3, first 2 shown]
	v_cvt_i32_f64_e32 v2, v[92:93]
	v_add_f64 v[58:59], v[68:69], v[58:59]
	v_cvt_f64_i32_e32 v[90:91], v2
	v_add_f64 v[34:35], v[34:35], v[58:59]
	v_add_f64 v[60:61], v[60:61], -v[90:91]
	v_add_f64 v[34:35], v[44:45], v[34:35]
	v_add_f64 v[66:67], v[64:65], v[60:61]
	v_add_f64 v[58:59], v[66:67], -v[60:61]
	v_cmp_le_f64_e32 vcc_lo, 0.5, v[66:67]
	v_add_f64 v[44:45], v[64:65], -v[58:59]
	v_cndmask_b32_e64 v81, 0, 0x3ff00000, vcc_lo
	v_add_co_ci_u32_e64 v84, null, 0, v2, vcc_lo
	v_add_f64 v[34:35], v[34:35], v[44:45]
	v_add_f64 v[44:45], v[66:67], -v[80:81]
	v_add_f64 v[58:59], v[44:45], v[34:35]
	v_mul_f64 v[60:61], v[58:59], s[12:13]
	v_add_f64 v[44:45], v[58:59], -v[44:45]
	v_fma_f64 v[62:63], v[58:59], s[12:13], -v[60:61]
	v_add_f64 v[34:35], v[34:35], -v[44:45]
	v_fma_f64 v[44:45], v[58:59], s[14:15], v[62:63]
	v_fma_f64 v[44:45], v[34:35], s[12:13], v[44:45]
	v_add_f64 v[34:35], v[60:61], v[44:45]
	v_add_f64 v[58:59], v[34:35], -v[60:61]
	v_add_f64 v[44:45], v[44:45], -v[58:59]
	s_andn2_saveexec_b32 s2, s2
	s_cbranch_execnz .LBB0_49
.LBB0_46:
	s_or_b32 exec_lo, exec_lo, s2
	s_and_b32 vcc_lo, exec_lo, s10
	s_cbranch_vccz .LBB0_50
.LBB0_47:
	v_cmp_le_f64_e64 vcc_lo, 0x7b000000, |s[30:31]|
	s_and_b32 s2, s31, 0x7fffffff
	s_mov_b32 s12, 0x54442d18
	s_mov_b32 s13, 0x3ff921fb
	;; [unrolled: 1-line block ×4, first 2 shown]
	v_cndmask_b32_e32 v59, s2, v21, vcc_lo
	v_cndmask_b32_e32 v58, s30, v20, vcc_lo
	s_mov_b32 s2, 0
	v_mul_f64 v[60:61], v[18:19], v[58:59]
	v_mul_f64 v[62:63], v[16:17], v[58:59]
	;; [unrolled: 1-line block ×3, first 2 shown]
	v_fma_f64 v[64:65], v[18:19], v[58:59], -v[60:61]
	v_fma_f64 v[90:91], v[16:17], v[58:59], -v[62:63]
	;; [unrolled: 1-line block ×3, first 2 shown]
	v_add_f64 v[66:67], v[62:63], v[64:65]
	v_add_f64 v[68:69], v[66:67], -v[62:63]
	v_add_f64 v[78:79], v[60:61], v[66:67]
	v_add_f64 v[76:77], v[66:67], -v[68:69]
	v_add_f64 v[64:65], v[64:65], -v[68:69]
	v_ldexp_f64 v[68:69], v[78:79], -2
	v_add_f64 v[60:61], v[78:79], -v[60:61]
	v_add_f64 v[62:63], v[62:63], -v[76:77]
	v_add_f64 v[76:77], v[80:81], v[90:91]
	v_cmp_neq_f64_e64 vcc_lo, 0x7ff00000, |v[68:69]|
	v_add_f64 v[60:61], v[66:67], -v[60:61]
	v_add_f64 v[62:63], v[64:65], v[62:63]
	v_fract_f64_e32 v[64:65], v[68:69]
	v_add_f64 v[66:67], v[76:77], v[62:63]
	v_ldexp_f64 v[64:65], v[64:65], 2
	v_add_f64 v[68:69], v[60:61], v[66:67]
	v_cndmask_b32_e32 v65, 0, v65, vcc_lo
	v_cndmask_b32_e32 v64, 0, v64, vcc_lo
	v_add_f64 v[92:93], v[66:67], -v[76:77]
	v_add_f64 v[78:79], v[68:69], v[64:65]
	v_add_f64 v[60:61], v[68:69], -v[60:61]
	v_add_f64 v[98:99], v[66:67], -v[92:93]
	;; [unrolled: 1-line block ×3, first 2 shown]
	v_cmp_gt_f64_e32 vcc_lo, 0, v[78:79]
	v_add_f64 v[78:79], v[76:77], -v[80:81]
	v_add_f64 v[60:61], v[66:67], -v[60:61]
	s_and_b32 s3, vcc_lo, exec_lo
	s_cselect_b32 s3, 0x40100000, 0
	v_add_f64 v[96:97], v[76:77], -v[78:79]
	v_add_f64 v[64:65], v[64:65], s[2:3]
	v_add_f64 v[78:79], v[90:91], -v[78:79]
	v_add_f64 v[76:77], v[76:77], -v[98:99]
	v_add_f64 v[90:91], v[80:81], -v[96:97]
	v_add_f64 v[94:95], v[68:69], v[64:65]
	v_add_f64 v[62:63], v[62:63], v[76:77]
	;; [unrolled: 1-line block ×3, first 2 shown]
	v_cvt_i32_f64_e32 v2, v[94:95]
	v_add_f64 v[62:63], v[78:79], v[62:63]
	v_cvt_f64_i32_e32 v[92:93], v2
	v_add_f64 v[58:59], v[58:59], v[62:63]
	v_add_f64 v[64:65], v[64:65], -v[92:93]
	v_add_f64 v[58:59], v[60:61], v[58:59]
	v_add_f64 v[76:77], v[68:69], v[64:65]
	v_add_f64 v[62:63], v[76:77], -v[64:65]
	v_cmp_le_f64_e32 vcc_lo, 0.5, v[76:77]
	v_add_f64 v[60:61], v[68:69], -v[62:63]
	s_and_b32 s3, vcc_lo, exec_lo
	s_cselect_b32 s3, 0x3ff00000, 0
	v_add_co_ci_u32_e64 v92, null, 0, v2, vcc_lo
	v_add_f64 v[58:59], v[58:59], v[60:61]
	v_add_f64 v[60:61], v[76:77], -s[2:3]
	v_add_f64 v[62:63], v[60:61], v[58:59]
	v_mul_f64 v[64:65], v[62:63], s[12:13]
	v_add_f64 v[60:61], v[62:63], -v[60:61]
	v_fma_f64 v[66:67], v[62:63], s[12:13], -v[64:65]
	v_add_f64 v[58:59], v[58:59], -v[60:61]
	v_fma_f64 v[60:61], v[62:63], s[14:15], v[66:67]
	v_fma_f64 v[58:59], v[58:59], s[12:13], v[60:61]
	v_add_f64 v[66:67], v[64:65], v[58:59]
	v_add_f64 v[60:61], v[66:67], -v[64:65]
	v_add_f64 v[68:69], v[58:59], -v[60:61]
	s_cbranch_execz .LBB0_51
	s_branch .LBB0_52
.LBB0_48:
	s_andn2_saveexec_b32 s2, s2
	s_cbranch_execz .LBB0_46
.LBB0_49:
	v_mov_b32_e32 v2, v114
	v_mov_b32_e32 v3, v115
	s_mov_b32 s12, 0x6dc9c883
	s_mov_b32 s13, 0x3fe45f30
	;; [unrolled: 1-line block ×4, first 2 shown]
	v_mul_f64 v[34:35], |v[2:3]|, s[12:13]
	s_mov_b32 s12, 0x54442d18
	s_mov_b32 s13, 0xbff921fb
	v_rndne_f64_e32 v[58:59], v[34:35]
	v_fma_f64 v[34:35], v[58:59], s[12:13], |v[2:3]|
	v_mul_f64 v[44:45], v[58:59], s[14:15]
	s_mov_b32 s12, 0x252049c0
	s_mov_b32 s13, 0xb97b839a
	v_cvt_i32_f64_e32 v84, v[58:59]
	v_fma_f64 v[62:63], v[58:59], s[14:15], v[34:35]
	v_add_f64 v[60:61], v[34:35], v[44:45]
	s_mov_b32 s15, 0x3c91a626
	v_add_f64 v[34:35], v[34:35], -v[60:61]
	v_add_f64 v[60:61], v[60:61], -v[62:63]
	v_add_f64 v[34:35], v[34:35], v[44:45]
	v_fma_f64 v[44:45], v[58:59], s[14:15], v[44:45]
	v_add_f64 v[34:35], v[60:61], v[34:35]
	v_add_f64 v[34:35], v[34:35], -v[44:45]
	v_fma_f64 v[44:45], v[58:59], s[12:13], v[34:35]
	v_add_f64 v[34:35], v[62:63], v[44:45]
	v_add_f64 v[60:61], v[34:35], -v[62:63]
	v_add_f64 v[44:45], v[44:45], -v[60:61]
	s_or_b32 exec_lo, exec_lo, s2
	s_and_b32 vcc_lo, exec_lo, s10
	s_cbranch_vccnz .LBB0_47
.LBB0_50:
                                        ; implicit-def: $vgpr92
                                        ; implicit-def: $vgpr66_vgpr67
                                        ; implicit-def: $vgpr68_vgpr69
.LBB0_51:
	s_mov_b32 s2, 0x6dc9c883
	s_mov_b32 s3, 0x3fe45f30
	;; [unrolled: 1-line block ×3, first 2 shown]
	v_mul_f64 v[58:59], |s[30:31]|, s[2:3]
	s_mov_b32 s2, 0x54442d18
	s_mov_b32 s3, 0xbff921fb
	;; [unrolled: 1-line block ×3, first 2 shown]
	v_rndne_f64_e32 v[58:59], v[58:59]
	v_fma_f64 v[60:61], v[58:59], s[2:3], |s[30:31]|
	v_mul_f64 v[62:63], v[58:59], s[12:13]
	s_mov_b32 s2, 0x252049c0
	s_mov_b32 s3, 0xb97b839a
	v_cvt_i32_f64_e32 v92, v[58:59]
	v_fma_f64 v[68:69], v[58:59], s[12:13], v[60:61]
	v_add_f64 v[64:65], v[60:61], v[62:63]
	s_mov_b32 s13, 0x3c91a626
	v_add_f64 v[60:61], v[60:61], -v[64:65]
	v_add_f64 v[64:65], v[64:65], -v[68:69]
	v_add_f64 v[60:61], v[60:61], v[62:63]
	v_fma_f64 v[62:63], v[58:59], s[12:13], v[62:63]
	v_add_f64 v[60:61], v[64:65], v[60:61]
	v_add_f64 v[60:61], v[60:61], -v[62:63]
	v_fma_f64 v[60:61], v[58:59], s[2:3], v[60:61]
	v_add_f64 v[66:67], v[68:69], v[60:61]
	v_add_f64 v[62:63], v[66:67], -v[68:69]
	v_add_f64 v[68:69], v[60:61], -v[62:63]
.LBB0_52:
                                        ; implicit-def: $vgpr91
                                        ; implicit-def: $vgpr62_vgpr63
                                        ; implicit-def: $vgpr64_vgpr65
	s_and_saveexec_b32 s2, s6
	s_xor_b32 s2, exec_lo, s2
	s_cbranch_execz .LBB0_54
; %bb.53:
	v_mov_b32_e32 v2, v114
	v_mov_b32_e32 v3, v115
	;; [unrolled: 1-line block ×3, first 2 shown]
	s_mov_b32 s12, 0x54442d18
	s_mov_b32 s13, 0x3ff921fb
	;; [unrolled: 1-line block ×3, first 2 shown]
	v_cmp_le_f64_e64 vcc_lo, 0x7b000000, |v[2:3]|
	s_mov_b32 s15, 0x3c91a626
	v_cndmask_b32_e32 v59, v89, v57, vcc_lo
	v_cndmask_b32_e32 v58, v2, v56, vcc_lo
	v_mul_f64 v[60:61], v[54:55], v[58:59]
	v_mul_f64 v[62:63], v[52:53], v[58:59]
	v_mul_f64 v[93:94], v[22:23], v[58:59]
	v_fma_f64 v[64:65], v[54:55], v[58:59], -v[60:61]
	v_fma_f64 v[95:96], v[52:53], v[58:59], -v[62:63]
	;; [unrolled: 1-line block ×3, first 2 shown]
	v_add_f64 v[76:77], v[62:63], v[64:65]
	v_add_f64 v[78:79], v[76:77], -v[62:63]
	v_add_f64 v[90:91], v[60:61], v[76:77]
	v_add_f64 v[80:81], v[76:77], -v[78:79]
	v_add_f64 v[64:65], v[64:65], -v[78:79]
	v_ldexp_f64 v[78:79], v[90:91], -2
	v_add_f64 v[60:61], v[90:91], -v[60:61]
	v_add_f64 v[62:63], v[62:63], -v[80:81]
	v_add_f64 v[80:81], v[93:94], v[95:96]
	v_cmp_neq_f64_e64 vcc_lo, 0x7ff00000, |v[78:79]|
	v_add_f64 v[60:61], v[76:77], -v[60:61]
	v_add_f64 v[62:63], v[64:65], v[62:63]
	v_fract_f64_e32 v[64:65], v[78:79]
	v_add_f64 v[76:77], v[80:81], v[62:63]
	v_ldexp_f64 v[64:65], v[64:65], 2
	v_add_f64 v[78:79], v[60:61], v[76:77]
	v_cndmask_b32_e32 v65, 0, v65, vcc_lo
	v_cndmask_b32_e32 v64, 0, v64, vcc_lo
	v_add_f64 v[90:91], v[78:79], v[64:65]
	v_add_f64 v[60:61], v[78:79], -v[60:61]
	v_cmp_gt_f64_e32 vcc_lo, 0, v[90:91]
	v_add_f64 v[90:91], v[80:81], -v[93:94]
	v_add_f64 v[60:61], v[76:77], -v[60:61]
	v_cndmask_b32_e64 v98, 0, 0x40100000, vcc_lo
	v_add_f64 v[102:103], v[80:81], -v[90:91]
	v_add_f64 v[90:91], v[95:96], -v[90:91]
	v_add_f64 v[64:65], v[64:65], v[97:98]
	v_add_f64 v[98:99], v[76:77], -v[80:81]
	v_add_f64 v[95:96], v[93:94], -v[102:103]
	v_add_f64 v[100:101], v[78:79], v[64:65]
	;; [unrolled: 3-line block ×3, first 2 shown]
	v_cvt_i32_f64_e32 v2, v[100:101]
	v_add_f64 v[80:81], v[80:81], -v[104:105]
	v_cvt_f64_i32_e32 v[98:99], v2
	v_add_f64 v[62:63], v[62:63], v[80:81]
	v_add_f64 v[64:65], v[64:65], -v[98:99]
	v_add_f64 v[62:63], v[90:91], v[62:63]
	v_add_f64 v[80:81], v[78:79], v[64:65]
	;; [unrolled: 1-line block ×3, first 2 shown]
	v_add_f64 v[62:63], v[80:81], -v[64:65]
	v_cmp_le_f64_e32 vcc_lo, 0.5, v[80:81]
	v_add_f64 v[58:59], v[60:61], v[58:59]
	v_add_f64 v[60:61], v[78:79], -v[62:63]
	v_cndmask_b32_e64 v98, 0, 0x3ff00000, vcc_lo
	v_add_co_ci_u32_e64 v91, null, 0, v2, vcc_lo
	v_add_f64 v[58:59], v[58:59], v[60:61]
	v_add_f64 v[60:61], v[80:81], -v[97:98]
	v_add_f64 v[62:63], v[60:61], v[58:59]
	v_mul_f64 v[64:65], v[62:63], s[12:13]
	v_add_f64 v[60:61], v[62:63], -v[60:61]
	v_fma_f64 v[76:77], v[62:63], s[12:13], -v[64:65]
	v_add_f64 v[58:59], v[58:59], -v[60:61]
	v_fma_f64 v[60:61], v[62:63], s[14:15], v[76:77]
	v_fma_f64 v[58:59], v[58:59], s[12:13], v[60:61]
	v_add_f64 v[62:63], v[64:65], v[58:59]
	v_add_f64 v[60:61], v[62:63], -v[64:65]
	v_add_f64 v[64:65], v[58:59], -v[60:61]
	s_andn2_saveexec_b32 s2, s2
	s_cbranch_execz .LBB0_56
	s_branch .LBB0_55
.LBB0_54:
	s_andn2_saveexec_b32 s2, s2
	s_cbranch_execz .LBB0_56
.LBB0_55:
	v_mov_b32_e32 v2, v114
	v_mov_b32_e32 v3, v115
	s_mov_b32 s12, 0x6dc9c883
	s_mov_b32 s13, 0x3fe45f30
	;; [unrolled: 1-line block ×4, first 2 shown]
	v_mul_f64 v[58:59], |v[2:3]|, s[12:13]
	s_mov_b32 s12, 0x54442d18
	s_mov_b32 s13, 0xbff921fb
	v_rndne_f64_e32 v[58:59], v[58:59]
	v_fma_f64 v[60:61], v[58:59], s[12:13], |v[2:3]|
	v_mul_f64 v[62:63], v[58:59], s[14:15]
	s_mov_b32 s12, 0x252049c0
	s_mov_b32 s13, 0xb97b839a
	v_cvt_i32_f64_e32 v91, v[58:59]
	v_fma_f64 v[76:77], v[58:59], s[14:15], v[60:61]
	v_add_f64 v[64:65], v[60:61], v[62:63]
	s_mov_b32 s15, 0x3c91a626
	v_add_f64 v[60:61], v[60:61], -v[64:65]
	v_add_f64 v[64:65], v[64:65], -v[76:77]
	v_add_f64 v[60:61], v[60:61], v[62:63]
	v_fma_f64 v[62:63], v[58:59], s[14:15], v[62:63]
	v_add_f64 v[60:61], v[64:65], v[60:61]
	v_add_f64 v[60:61], v[60:61], -v[62:63]
	v_fma_f64 v[60:61], v[58:59], s[12:13], v[60:61]
	v_add_f64 v[62:63], v[76:77], v[60:61]
	v_add_f64 v[64:65], v[62:63], -v[76:77]
	v_add_f64 v[64:65], v[60:61], -v[64:65]
.LBB0_56:
	s_or_b32 exec_lo, exec_lo, s2
                                        ; implicit-def: $vgpr90
                                        ; implicit-def: $vgpr58_vgpr59
                                        ; implicit-def: $vgpr60_vgpr61
	s_and_saveexec_b32 s2, s6
	s_xor_b32 s2, exec_lo, s2
	s_cbranch_execz .LBB0_60
; %bb.57:
	v_mov_b32_e32 v2, v114
	v_mov_b32_e32 v3, v115
	;; [unrolled: 1-line block ×3, first 2 shown]
	s_mov_b32 s12, 0x54442d18
	s_mov_b32 s13, 0x3ff921fb
	;; [unrolled: 1-line block ×3, first 2 shown]
	v_cmp_le_f64_e64 vcc_lo, 0x7b000000, |v[2:3]|
	s_mov_b32 s15, 0x3c91a626
	v_cndmask_b32_e32 v59, v89, v57, vcc_lo
	v_cndmask_b32_e32 v58, v2, v56, vcc_lo
	v_mul_f64 v[60:61], v[54:55], v[58:59]
	v_mul_f64 v[76:77], v[52:53], v[58:59]
	;; [unrolled: 1-line block ×3, first 2 shown]
	v_fma_f64 v[78:79], v[54:55], v[58:59], -v[60:61]
	v_fma_f64 v[101:102], v[52:53], v[58:59], -v[76:77]
	v_fma_f64 v[58:59], v[22:23], v[58:59], -v[99:100]
	v_add_f64 v[80:81], v[76:77], v[78:79]
	v_add_f64 v[93:94], v[80:81], -v[76:77]
	v_add_f64 v[97:98], v[60:61], v[80:81]
	v_add_f64 v[95:96], v[80:81], -v[93:94]
	v_add_f64 v[78:79], v[78:79], -v[93:94]
	v_ldexp_f64 v[93:94], v[97:98], -2
	v_add_f64 v[60:61], v[97:98], -v[60:61]
	v_add_f64 v[76:77], v[76:77], -v[95:96]
	v_add_f64 v[95:96], v[99:100], v[101:102]
	v_cmp_neq_f64_e64 vcc_lo, 0x7ff00000, |v[93:94]|
	v_add_f64 v[60:61], v[80:81], -v[60:61]
	v_add_f64 v[76:77], v[78:79], v[76:77]
	v_fract_f64_e32 v[78:79], v[93:94]
	v_add_f64 v[80:81], v[95:96], v[76:77]
	v_ldexp_f64 v[78:79], v[78:79], 2
	v_add_f64 v[93:94], v[60:61], v[80:81]
	v_cndmask_b32_e32 v79, 0, v79, vcc_lo
	v_cndmask_b32_e32 v78, 0, v78, vcc_lo
	v_add_f64 v[97:98], v[93:94], v[78:79]
	v_add_f64 v[60:61], v[93:94], -v[60:61]
	v_cmp_gt_f64_e32 vcc_lo, 0, v[97:98]
	v_add_f64 v[97:98], v[95:96], -v[99:100]
	v_add_f64 v[60:61], v[80:81], -v[60:61]
	v_cndmask_b32_e64 v104, 0, 0x40100000, vcc_lo
	v_add_f64 v[108:109], v[95:96], -v[97:98]
	v_add_f64 v[97:98], v[101:102], -v[97:98]
	v_add_f64 v[78:79], v[78:79], v[103:104]
	v_add_f64 v[104:105], v[80:81], -v[95:96]
	v_add_f64 v[101:102], v[99:100], -v[108:109]
	v_add_f64 v[106:107], v[93:94], v[78:79]
	v_add_f64 v[110:111], v[80:81], -v[104:105]
	v_add_f64 v[76:77], v[76:77], -v[104:105]
	v_add_f64 v[97:98], v[97:98], v[101:102]
	v_cvt_i32_f64_e32 v2, v[106:107]
	v_add_f64 v[95:96], v[95:96], -v[110:111]
	v_cvt_f64_i32_e32 v[104:105], v2
	v_add_f64 v[76:77], v[76:77], v[95:96]
	v_add_f64 v[78:79], v[78:79], -v[104:105]
	v_add_f64 v[76:77], v[97:98], v[76:77]
	v_add_f64 v[95:96], v[93:94], v[78:79]
	;; [unrolled: 1-line block ×3, first 2 shown]
	v_add_f64 v[76:77], v[95:96], -v[78:79]
	v_cmp_le_f64_e32 vcc_lo, 0.5, v[95:96]
	v_add_f64 v[58:59], v[60:61], v[58:59]
	v_add_f64 v[60:61], v[93:94], -v[76:77]
	v_cndmask_b32_e64 v104, 0, 0x3ff00000, vcc_lo
	v_add_co_ci_u32_e64 v90, null, 0, v2, vcc_lo
	v_add_f64 v[58:59], v[58:59], v[60:61]
	v_add_f64 v[60:61], v[95:96], -v[103:104]
	v_add_f64 v[76:77], v[60:61], v[58:59]
	v_mul_f64 v[78:79], v[76:77], s[12:13]
	v_add_f64 v[60:61], v[76:77], -v[60:61]
	v_fma_f64 v[80:81], v[76:77], s[12:13], -v[78:79]
	v_add_f64 v[58:59], v[58:59], -v[60:61]
	v_fma_f64 v[60:61], v[76:77], s[14:15], v[80:81]
	v_fma_f64 v[60:61], v[58:59], s[12:13], v[60:61]
	v_add_f64 v[58:59], v[78:79], v[60:61]
	v_add_f64 v[76:77], v[58:59], -v[78:79]
	v_add_f64 v[60:61], v[60:61], -v[76:77]
	s_andn2_saveexec_b32 s2, s2
	s_cbranch_execnz .LBB0_61
.LBB0_58:
	s_or_b32 exec_lo, exec_lo, s2
	s_and_b32 vcc_lo, exec_lo, s10
	s_cbranch_vccz .LBB0_62
.LBB0_59:
	v_cmp_le_f64_e64 vcc_lo, 0x7b000000, |s[30:31]|
	s_and_b32 s2, s31, 0x7fffffff
	s_mov_b32 s10, 0x54442d18
	s_mov_b32 s11, 0x3ff921fb
	;; [unrolled: 1-line block ×4, first 2 shown]
	v_cndmask_b32_e32 v21, s2, v21, vcc_lo
	v_cndmask_b32_e32 v20, s30, v20, vcc_lo
	s_mov_b32 s2, 0
	v_mul_f64 v[76:77], v[18:19], v[20:21]
	v_mul_f64 v[78:79], v[16:17], v[20:21]
	;; [unrolled: 1-line block ×3, first 2 shown]
	v_fma_f64 v[18:19], v[18:19], v[20:21], -v[76:77]
	v_fma_f64 v[16:17], v[16:17], v[20:21], -v[78:79]
	;; [unrolled: 1-line block ×3, first 2 shown]
	v_add_f64 v[80:81], v[78:79], v[18:19]
	v_add_f64 v[93:94], v[80:81], -v[78:79]
	v_add_f64 v[97:98], v[76:77], v[80:81]
	v_add_f64 v[95:96], v[80:81], -v[93:94]
	v_add_f64 v[18:19], v[18:19], -v[93:94]
	v_ldexp_f64 v[93:94], v[97:98], -2
	v_add_f64 v[76:77], v[97:98], -v[76:77]
	v_add_f64 v[78:79], v[78:79], -v[95:96]
	v_add_f64 v[95:96], v[99:100], v[16:17]
	v_cmp_neq_f64_e64 vcc_lo, 0x7ff00000, |v[93:94]|
	v_add_f64 v[76:77], v[80:81], -v[76:77]
	v_add_f64 v[18:19], v[18:19], v[78:79]
	v_fract_f64_e32 v[78:79], v[93:94]
	v_add_f64 v[80:81], v[95:96], v[18:19]
	v_ldexp_f64 v[78:79], v[78:79], 2
	v_add_f64 v[93:94], v[76:77], v[80:81]
	v_cndmask_b32_e32 v79, 0, v79, vcc_lo
	v_cndmask_b32_e32 v78, 0, v78, vcc_lo
	v_add_f64 v[101:102], v[80:81], -v[95:96]
	v_add_f64 v[97:98], v[93:94], v[78:79]
	v_add_f64 v[20:21], v[93:94], -v[76:77]
	v_add_f64 v[107:108], v[80:81], -v[101:102]
	;; [unrolled: 1-line block ×3, first 2 shown]
	v_cmp_gt_f64_e32 vcc_lo, 0, v[97:98]
	v_add_f64 v[97:98], v[95:96], -v[99:100]
	v_add_f64 v[20:21], v[80:81], -v[20:21]
	s_and_b32 s3, vcc_lo, exec_lo
	s_cselect_b32 s3, 0x40100000, 0
	v_add_f64 v[105:106], v[95:96], -v[97:98]
	v_add_f64 v[78:79], v[78:79], s[2:3]
	v_add_f64 v[16:17], v[16:17], -v[97:98]
	v_add_f64 v[95:96], v[95:96], -v[107:108]
	;; [unrolled: 1-line block ×3, first 2 shown]
	v_add_f64 v[103:104], v[93:94], v[78:79]
	v_add_f64 v[18:19], v[18:19], v[95:96]
	;; [unrolled: 1-line block ×3, first 2 shown]
	v_cvt_i32_f64_e32 v2, v[103:104]
	v_add_f64 v[16:17], v[16:17], v[18:19]
	v_cvt_f64_i32_e32 v[101:102], v2
	v_add_f64 v[7:8], v[7:8], v[16:17]
	v_add_f64 v[78:79], v[78:79], -v[101:102]
	v_add_f64 v[7:8], v[20:21], v[7:8]
	v_add_f64 v[18:19], v[93:94], v[78:79]
	v_add_f64 v[16:17], v[18:19], -v[78:79]
	v_cmp_le_f64_e32 vcc_lo, 0.5, v[18:19]
	v_add_f64 v[16:17], v[93:94], -v[16:17]
	s_and_b32 s3, vcc_lo, exec_lo
	s_cselect_b32 s3, 0x3ff00000, 0
	v_add_co_ci_u32_e64 v93, null, 0, v2, vcc_lo
	v_add_f64 v[7:8], v[7:8], v[16:17]
	v_add_f64 v[16:17], v[18:19], -s[2:3]
	v_add_f64 v[18:19], v[16:17], v[7:8]
	v_mul_f64 v[76:77], v[18:19], s[10:11]
	v_add_f64 v[16:17], v[18:19], -v[16:17]
	v_fma_f64 v[20:21], v[18:19], s[10:11], -v[76:77]
	v_add_f64 v[7:8], v[7:8], -v[16:17]
	v_fma_f64 v[16:17], v[18:19], s[12:13], v[20:21]
	v_fma_f64 v[7:8], v[7:8], s[10:11], v[16:17]
	v_add_f64 v[20:21], v[76:77], v[7:8]
	v_add_f64 v[16:17], v[20:21], -v[76:77]
	v_add_f64 v[76:77], v[7:8], -v[16:17]
	s_cbranch_execz .LBB0_63
	s_branch .LBB0_64
.LBB0_60:
	s_andn2_saveexec_b32 s2, s2
	s_cbranch_execz .LBB0_58
.LBB0_61:
	v_mov_b32_e32 v2, v114
	v_mov_b32_e32 v3, v115
	s_mov_b32 s12, 0x6dc9c883
	s_mov_b32 s13, 0x3fe45f30
	;; [unrolled: 1-line block ×4, first 2 shown]
	v_mul_f64 v[58:59], |v[2:3]|, s[12:13]
	s_mov_b32 s12, 0x54442d18
	s_mov_b32 s13, 0xbff921fb
	v_rndne_f64_e32 v[76:77], v[58:59]
	v_fma_f64 v[58:59], v[76:77], s[12:13], |v[2:3]|
	v_mul_f64 v[60:61], v[76:77], s[14:15]
	s_mov_b32 s12, 0x252049c0
	s_mov_b32 s13, 0xb97b839a
	v_cvt_i32_f64_e32 v90, v[76:77]
	v_fma_f64 v[80:81], v[76:77], s[14:15], v[58:59]
	v_add_f64 v[78:79], v[58:59], v[60:61]
	s_mov_b32 s15, 0x3c91a626
	v_add_f64 v[58:59], v[58:59], -v[78:79]
	v_add_f64 v[78:79], v[78:79], -v[80:81]
	v_add_f64 v[58:59], v[58:59], v[60:61]
	v_fma_f64 v[60:61], v[76:77], s[14:15], v[60:61]
	v_add_f64 v[58:59], v[78:79], v[58:59]
	v_add_f64 v[58:59], v[58:59], -v[60:61]
	v_fma_f64 v[60:61], v[76:77], s[12:13], v[58:59]
	v_add_f64 v[58:59], v[80:81], v[60:61]
	v_add_f64 v[78:79], v[58:59], -v[80:81]
	v_add_f64 v[60:61], v[60:61], -v[78:79]
	s_or_b32 exec_lo, exec_lo, s2
	s_and_b32 vcc_lo, exec_lo, s10
	s_cbranch_vccnz .LBB0_59
.LBB0_62:
                                        ; implicit-def: $vgpr93
                                        ; implicit-def: $vgpr20_vgpr21
                                        ; implicit-def: $vgpr76_vgpr77
.LBB0_63:
	s_mov_b32 s2, 0x6dc9c883
	s_mov_b32 s3, 0x3fe45f30
	;; [unrolled: 1-line block ×3, first 2 shown]
	v_mul_f64 v[7:8], |s[30:31]|, s[2:3]
	s_mov_b32 s2, 0x54442d18
	s_mov_b32 s3, 0xbff921fb
	;; [unrolled: 1-line block ×3, first 2 shown]
	v_rndne_f64_e32 v[7:8], v[7:8]
	v_fma_f64 v[16:17], v[7:8], s[2:3], |s[30:31]|
	v_mul_f64 v[18:19], v[7:8], s[10:11]
	s_mov_b32 s2, 0x252049c0
	s_mov_b32 s3, 0xb97b839a
	v_cvt_i32_f64_e32 v93, v[7:8]
	v_fma_f64 v[76:77], v[7:8], s[10:11], v[16:17]
	v_add_f64 v[20:21], v[16:17], v[18:19]
	s_mov_b32 s11, 0x3c91a626
	v_add_f64 v[16:17], v[16:17], -v[20:21]
	v_add_f64 v[20:21], v[20:21], -v[76:77]
	v_add_f64 v[16:17], v[16:17], v[18:19]
	v_fma_f64 v[18:19], v[7:8], s[10:11], v[18:19]
	v_add_f64 v[16:17], v[20:21], v[16:17]
	v_add_f64 v[16:17], v[16:17], -v[18:19]
	v_fma_f64 v[16:17], v[7:8], s[2:3], v[16:17]
	v_add_f64 v[20:21], v[76:77], v[16:17]
	v_add_f64 v[18:19], v[20:21], -v[76:77]
	v_add_f64 v[76:77], v[16:17], -v[18:19]
.LBB0_64:
                                        ; implicit-def: $vgpr94
                                        ; implicit-def: $vgpr78_vgpr79
                                        ; implicit-def: $vgpr80_vgpr81
	s_and_saveexec_b32 s2, s0
	s_xor_b32 s0, exec_lo, s2
	s_cbranch_execz .LBB0_66
; %bb.65:
	v_mov_b32_e32 v2, v4
	v_mov_b32_e32 v3, v5
	;; [unrolled: 1-line block ×3, first 2 shown]
	s_mov_b32 s2, 0x54442d18
	s_mov_b32 s3, 0x3ff921fb
	;; [unrolled: 1-line block ×3, first 2 shown]
	v_cmp_le_f64_e64 vcc_lo, 0x7b000000, |v[2:3]|
	s_mov_b32 s11, 0x3c91a626
	v_cndmask_b32_e32 v7, v6, v75, vcc_lo
	v_cndmask_b32_e32 v6, v2, v74, vcc_lo
	v_mul_f64 v[8:9], v[72:73], v[6:7]
	v_mul_f64 v[16:17], v[70:71], v[6:7]
	;; [unrolled: 1-line block ×3, first 2 shown]
	v_fma_f64 v[18:19], v[72:73], v[6:7], -v[8:9]
	v_fma_f64 v[70:71], v[70:71], v[6:7], -v[16:17]
	;; [unrolled: 1-line block ×3, first 2 shown]
	v_add_f64 v[72:73], v[16:17], v[18:19]
	v_add_f64 v[74:75], v[72:73], -v[16:17]
	v_add_f64 v[80:81], v[8:9], v[72:73]
	v_add_f64 v[78:79], v[72:73], -v[74:75]
	v_add_f64 v[18:19], v[18:19], -v[74:75]
	v_ldexp_f64 v[74:75], v[80:81], -2
	v_add_f64 v[8:9], v[80:81], -v[8:9]
	v_add_f64 v[16:17], v[16:17], -v[78:79]
	v_add_f64 v[78:79], v[94:95], v[70:71]
	v_cmp_neq_f64_e64 vcc_lo, 0x7ff00000, |v[74:75]|
	v_add_f64 v[8:9], v[72:73], -v[8:9]
	v_add_f64 v[16:17], v[18:19], v[16:17]
	v_fract_f64_e32 v[18:19], v[74:75]
	v_add_f64 v[72:73], v[78:79], v[16:17]
	v_ldexp_f64 v[18:19], v[18:19], 2
	v_add_f64 v[74:75], v[8:9], v[72:73]
	v_cndmask_b32_e32 v19, 0, v19, vcc_lo
	v_cndmask_b32_e32 v18, 0, v18, vcc_lo
	v_add_f64 v[80:81], v[74:75], v[18:19]
	v_add_f64 v[6:7], v[74:75], -v[8:9]
	v_cmp_gt_f64_e32 vcc_lo, 0, v[80:81]
	v_add_f64 v[80:81], v[78:79], -v[94:95]
	v_add_f64 v[6:7], v[72:73], -v[6:7]
	v_cndmask_b32_e64 v97, 0, 0x40100000, vcc_lo
	v_add_f64 v[101:102], v[78:79], -v[80:81]
	v_add_f64 v[70:71], v[70:71], -v[80:81]
	v_add_f64 v[18:19], v[18:19], v[96:97]
	v_add_f64 v[97:98], v[72:73], -v[78:79]
	v_add_f64 v[80:81], v[94:95], -v[101:102]
	v_add_f64 v[99:100], v[74:75], v[18:19]
	;; [unrolled: 3-line block ×3, first 2 shown]
	v_cvt_i32_f64_e32 v2, v[99:100]
	v_add_f64 v[78:79], v[78:79], -v[103:104]
	v_cvt_f64_i32_e32 v[97:98], v2
	v_add_f64 v[16:17], v[16:17], v[78:79]
	v_add_f64 v[18:19], v[18:19], -v[97:98]
	v_add_f64 v[8:9], v[70:71], v[16:17]
	v_add_f64 v[16:17], v[74:75], v[18:19]
	;; [unrolled: 1-line block ×3, first 2 shown]
	v_add_f64 v[8:9], v[16:17], -v[18:19]
	v_cmp_le_f64_e32 vcc_lo, 0.5, v[16:17]
	v_add_f64 v[0:1], v[6:7], v[0:1]
	v_add_f64 v[6:7], v[74:75], -v[8:9]
	v_cndmask_b32_e64 v97, 0, 0x3ff00000, vcc_lo
	v_add_co_ci_u32_e64 v94, null, 0, v2, vcc_lo
	v_add_f64 v[0:1], v[0:1], v[6:7]
	v_add_f64 v[6:7], v[16:17], -v[96:97]
	v_add_f64 v[8:9], v[6:7], v[0:1]
	v_mul_f64 v[16:17], v[8:9], s[2:3]
	v_add_f64 v[6:7], v[8:9], -v[6:7]
	v_fma_f64 v[18:19], v[8:9], s[2:3], -v[16:17]
	v_add_f64 v[0:1], v[0:1], -v[6:7]
	v_fma_f64 v[6:7], v[8:9], s[10:11], v[18:19]
	v_fma_f64 v[0:1], v[0:1], s[2:3], v[6:7]
	v_add_f64 v[78:79], v[16:17], v[0:1]
	v_add_f64 v[6:7], v[78:79], -v[16:17]
	v_add_f64 v[80:81], v[0:1], -v[6:7]
	s_andn2_saveexec_b32 s0, s0
	s_cbranch_execz .LBB0_68
	s_branch .LBB0_67
.LBB0_66:
	s_andn2_saveexec_b32 s0, s0
	s_cbranch_execz .LBB0_68
.LBB0_67:
	v_mov_b32_e32 v2, v4
	v_mov_b32_e32 v3, v5
	s_mov_b32 s2, 0x6dc9c883
	s_mov_b32 s3, 0x3fe45f30
	;; [unrolled: 1-line block ×4, first 2 shown]
	v_mul_f64 v[0:1], |v[2:3]|, s[2:3]
	s_mov_b32 s2, 0x54442d18
	s_mov_b32 s3, 0xbff921fb
	v_rndne_f64_e32 v[0:1], v[0:1]
	v_fma_f64 v[6:7], v[0:1], s[2:3], |v[2:3]|
	v_mul_f64 v[8:9], v[0:1], s[10:11]
	s_mov_b32 s2, 0x252049c0
	s_mov_b32 s3, 0xb97b839a
	v_cvt_i32_f64_e32 v94, v[0:1]
	v_fma_f64 v[18:19], v[0:1], s[10:11], v[6:7]
	v_add_f64 v[16:17], v[6:7], v[8:9]
	s_mov_b32 s11, 0x3c91a626
	v_add_f64 v[6:7], v[6:7], -v[16:17]
	v_add_f64 v[16:17], v[16:17], -v[18:19]
	v_add_f64 v[6:7], v[6:7], v[8:9]
	v_fma_f64 v[8:9], v[0:1], s[10:11], v[8:9]
	v_add_f64 v[6:7], v[16:17], v[6:7]
	v_add_f64 v[6:7], v[6:7], -v[8:9]
	v_fma_f64 v[6:7], v[0:1], s[2:3], v[6:7]
	v_add_f64 v[78:79], v[18:19], v[6:7]
	v_add_f64 v[8:9], v[78:79], -v[18:19]
	v_add_f64 v[80:81], v[6:7], -v[8:9]
.LBB0_68:
	s_or_b32 exec_lo, exec_lo, s0
                                        ; implicit-def: $vgpr73
                                        ; implicit-def: $vgpr6_vgpr7
                                        ; implicit-def: $vgpr70_vgpr71
	s_and_saveexec_b32 s0, s6
	s_xor_b32 s0, exec_lo, s0
	s_cbranch_execz .LBB0_70
; %bb.69:
	v_mov_b32_e32 v0, v114
	v_mov_b32_e32 v1, v115
	;; [unrolled: 1-line block ×3, first 2 shown]
	s_mov_b32 s2, 0x54442d18
	s_mov_b32 s3, 0x3ff921fb
	;; [unrolled: 1-line block ×3, first 2 shown]
	v_cmp_le_f64_e64 vcc_lo, 0x7b000000, |v[0:1]|
	s_mov_b32 s11, 0x3c91a626
	v_cndmask_b32_e32 v1, v89, v57, vcc_lo
	v_cndmask_b32_e32 v0, v0, v56, vcc_lo
	v_mul_f64 v[6:7], v[54:55], v[0:1]
	v_mul_f64 v[8:9], v[52:53], v[0:1]
	;; [unrolled: 1-line block ×3, first 2 shown]
	v_fma_f64 v[16:17], v[54:55], v[0:1], -v[6:7]
	v_fma_f64 v[97:98], v[52:53], v[0:1], -v[8:9]
	;; [unrolled: 1-line block ×3, first 2 shown]
	v_add_f64 v[18:19], v[8:9], v[16:17]
	v_add_f64 v[70:71], v[18:19], -v[8:9]
	v_add_f64 v[74:75], v[6:7], v[18:19]
	v_add_f64 v[72:73], v[18:19], -v[70:71]
	v_add_f64 v[16:17], v[16:17], -v[70:71]
	v_ldexp_f64 v[70:71], v[74:75], -2
	v_add_f64 v[6:7], v[74:75], -v[6:7]
	v_add_f64 v[8:9], v[8:9], -v[72:73]
	v_add_f64 v[72:73], v[95:96], v[97:98]
	v_cmp_neq_f64_e64 vcc_lo, 0x7ff00000, |v[70:71]|
	v_add_f64 v[6:7], v[18:19], -v[6:7]
	v_add_f64 v[8:9], v[16:17], v[8:9]
	v_fract_f64_e32 v[16:17], v[70:71]
	v_add_f64 v[18:19], v[72:73], v[8:9]
	v_ldexp_f64 v[16:17], v[16:17], 2
	v_add_f64 v[70:71], v[6:7], v[18:19]
	v_cndmask_b32_e32 v17, 0, v17, vcc_lo
	v_cndmask_b32_e32 v16, 0, v16, vcc_lo
	v_add_f64 v[74:75], v[70:71], v[16:17]
	v_add_f64 v[6:7], v[70:71], -v[6:7]
	v_cmp_gt_f64_e32 vcc_lo, 0, v[74:75]
	v_add_f64 v[74:75], v[72:73], -v[95:96]
	v_add_f64 v[6:7], v[18:19], -v[6:7]
	v_cndmask_b32_e64 v100, 0, 0x40100000, vcc_lo
	v_add_f64 v[104:105], v[72:73], -v[74:75]
	v_add_f64 v[74:75], v[97:98], -v[74:75]
	v_add_f64 v[16:17], v[16:17], v[99:100]
	v_add_f64 v[100:101], v[18:19], -v[72:73]
	v_add_f64 v[97:98], v[95:96], -v[104:105]
	v_add_f64 v[102:103], v[70:71], v[16:17]
	v_add_f64 v[106:107], v[18:19], -v[100:101]
	v_add_f64 v[8:9], v[8:9], -v[100:101]
	v_add_f64 v[74:75], v[74:75], v[97:98]
	v_cvt_i32_f64_e32 v2, v[102:103]
	v_add_f64 v[72:73], v[72:73], -v[106:107]
	v_cvt_f64_i32_e32 v[100:101], v2
	v_add_f64 v[8:9], v[8:9], v[72:73]
	v_add_f64 v[16:17], v[16:17], -v[100:101]
	v_add_f64 v[8:9], v[74:75], v[8:9]
	v_add_f64 v[74:75], v[70:71], v[16:17]
	;; [unrolled: 1-line block ×3, first 2 shown]
	v_add_f64 v[8:9], v[74:75], -v[16:17]
	v_cmp_le_f64_e32 vcc_lo, 0.5, v[74:75]
	v_add_f64 v[0:1], v[6:7], v[0:1]
	v_add_f64 v[6:7], v[70:71], -v[8:9]
	v_cndmask_b32_e64 v100, 0, 0x3ff00000, vcc_lo
	v_add_co_ci_u32_e64 v73, null, 0, v2, vcc_lo
	v_add_f64 v[0:1], v[0:1], v[6:7]
	v_add_f64 v[6:7], v[74:75], -v[99:100]
	v_add_f64 v[8:9], v[6:7], v[0:1]
	v_mul_f64 v[16:17], v[8:9], s[2:3]
	v_add_f64 v[6:7], v[8:9], -v[6:7]
	v_fma_f64 v[18:19], v[8:9], s[2:3], -v[16:17]
	v_add_f64 v[0:1], v[0:1], -v[6:7]
	v_fma_f64 v[6:7], v[8:9], s[10:11], v[18:19]
	v_fma_f64 v[0:1], v[0:1], s[2:3], v[6:7]
	v_add_f64 v[6:7], v[16:17], v[0:1]
	v_add_f64 v[8:9], v[6:7], -v[16:17]
	v_add_f64 v[70:71], v[0:1], -v[8:9]
	s_andn2_saveexec_b32 s0, s0
	s_cbranch_execnz .LBB0_71
	s_branch .LBB0_72
.LBB0_70:
	s_andn2_saveexec_b32 s0, s0
	s_cbranch_execz .LBB0_72
.LBB0_71:
	v_mov_b32_e32 v2, v114
	v_mov_b32_e32 v3, v115
	s_mov_b32 s2, 0x6dc9c883
	s_mov_b32 s3, 0x3fe45f30
	;; [unrolled: 1-line block ×4, first 2 shown]
	v_mul_f64 v[0:1], |v[2:3]|, s[2:3]
	s_mov_b32 s2, 0x54442d18
	s_mov_b32 s3, 0xbff921fb
	v_rndne_f64_e32 v[0:1], v[0:1]
	v_fma_f64 v[6:7], v[0:1], s[2:3], |v[2:3]|
	v_mul_f64 v[8:9], v[0:1], s[10:11]
	s_mov_b32 s2, 0x252049c0
	s_mov_b32 s3, 0xb97b839a
	v_cvt_i32_f64_e32 v73, v[0:1]
	v_fma_f64 v[18:19], v[0:1], s[10:11], v[6:7]
	v_add_f64 v[16:17], v[6:7], v[8:9]
	s_mov_b32 s11, 0x3c91a626
	v_add_f64 v[6:7], v[6:7], -v[16:17]
	v_add_f64 v[16:17], v[16:17], -v[18:19]
	v_add_f64 v[6:7], v[6:7], v[8:9]
	v_fma_f64 v[8:9], v[0:1], s[10:11], v[8:9]
	v_add_f64 v[6:7], v[16:17], v[6:7]
	v_add_f64 v[6:7], v[6:7], -v[8:9]
	v_fma_f64 v[8:9], v[0:1], s[2:3], v[6:7]
	v_add_f64 v[6:7], v[18:19], v[8:9]
	v_add_f64 v[16:17], v[6:7], -v[18:19]
	v_add_f64 v[70:71], v[8:9], -v[16:17]
.LBB0_72:
	s_or_b32 exec_lo, exec_lo, s0
	s_load_dwordx2 s[34:35], s[4:5], 0x0
                                        ; implicit-def: $vgpr72
                                        ; implicit-def: $vgpr16_vgpr17
                                        ; implicit-def: $vgpr18_vgpr19
	s_and_saveexec_b32 s0, s6
	s_xor_b32 s0, exec_lo, s0
	s_cbranch_execz .LBB0_74
; %bb.73:
	v_mov_b32_e32 v0, v114
	v_mov_b32_e32 v1, v115
	;; [unrolled: 1-line block ×3, first 2 shown]
	s_mov_b32 s2, 0x54442d18
	s_mov_b32 s3, 0x3ff921fb
	;; [unrolled: 1-line block ×3, first 2 shown]
	v_cmp_le_f64_e64 vcc_lo, 0x7b000000, |v[0:1]|
	s_mov_b32 s5, 0x3c91a626
	v_cndmask_b32_e32 v1, v89, v57, vcc_lo
	v_cndmask_b32_e32 v0, v0, v56, vcc_lo
	v_mul_f64 v[8:9], v[54:55], v[0:1]
	v_mul_f64 v[16:17], v[52:53], v[0:1]
	v_mul_f64 v[97:98], v[22:23], v[0:1]
	v_fma_f64 v[18:19], v[54:55], v[0:1], -v[8:9]
	v_fma_f64 v[52:53], v[52:53], v[0:1], -v[16:17]
	;; [unrolled: 1-line block ×3, first 2 shown]
	v_add_f64 v[54:55], v[16:17], v[18:19]
	v_add_f64 v[56:57], v[54:55], -v[16:17]
	v_add_f64 v[95:96], v[8:9], v[54:55]
	v_add_f64 v[74:75], v[54:55], -v[56:57]
	v_add_f64 v[18:19], v[18:19], -v[56:57]
	v_ldexp_f64 v[56:57], v[95:96], -2
	v_add_f64 v[8:9], v[95:96], -v[8:9]
	v_add_f64 v[16:17], v[16:17], -v[74:75]
	v_add_f64 v[74:75], v[97:98], v[52:53]
	v_cmp_neq_f64_e64 vcc_lo, 0x7ff00000, |v[56:57]|
	v_add_f64 v[8:9], v[54:55], -v[8:9]
	v_add_f64 v[16:17], v[18:19], v[16:17]
	v_fract_f64_e32 v[18:19], v[56:57]
	v_add_f64 v[54:55], v[74:75], v[16:17]
	v_ldexp_f64 v[18:19], v[18:19], 2
	v_add_f64 v[56:57], v[8:9], v[54:55]
	v_cndmask_b32_e32 v19, 0, v19, vcc_lo
	v_cndmask_b32_e32 v18, 0, v18, vcc_lo
	v_add_f64 v[95:96], v[56:57], v[18:19]
	v_add_f64 v[8:9], v[56:57], -v[8:9]
	v_cmp_gt_f64_e32 vcc_lo, 0, v[95:96]
	v_add_f64 v[95:96], v[74:75], -v[97:98]
	v_add_f64 v[8:9], v[54:55], -v[8:9]
	v_cndmask_b32_e64 v100, 0, 0x40100000, vcc_lo
	v_add_f64 v[104:105], v[74:75], -v[95:96]
	v_add_f64 v[52:53], v[52:53], -v[95:96]
	v_add_f64 v[18:19], v[18:19], v[99:100]
	v_add_f64 v[100:101], v[54:55], -v[74:75]
	v_add_f64 v[95:96], v[97:98], -v[104:105]
	v_add_f64 v[102:103], v[56:57], v[18:19]
	;; [unrolled: 3-line block ×3, first 2 shown]
	v_cvt_i32_f64_e32 v2, v[102:103]
	v_add_f64 v[74:75], v[74:75], -v[106:107]
	v_cvt_f64_i32_e32 v[100:101], v2
	v_add_f64 v[16:17], v[16:17], v[74:75]
	v_add_f64 v[18:19], v[18:19], -v[100:101]
	v_add_f64 v[16:17], v[52:53], v[16:17]
	v_add_f64 v[22:23], v[56:57], v[18:19]
	;; [unrolled: 1-line block ×3, first 2 shown]
	v_add_f64 v[16:17], v[22:23], -v[18:19]
	v_cmp_le_f64_e32 vcc_lo, 0.5, v[22:23]
	v_add_f64 v[0:1], v[8:9], v[0:1]
	v_add_f64 v[8:9], v[56:57], -v[16:17]
	v_cndmask_b32_e64 v100, 0, 0x3ff00000, vcc_lo
	v_add_co_ci_u32_e64 v72, null, 0, v2, vcc_lo
	v_add_f64 v[0:1], v[0:1], v[8:9]
	v_add_f64 v[8:9], v[22:23], -v[99:100]
	v_add_f64 v[16:17], v[8:9], v[0:1]
	v_mul_f64 v[18:19], v[16:17], s[2:3]
	v_add_f64 v[8:9], v[16:17], -v[8:9]
	v_fma_f64 v[22:23], v[16:17], s[2:3], -v[18:19]
	v_add_f64 v[0:1], v[0:1], -v[8:9]
	v_fma_f64 v[8:9], v[16:17], s[4:5], v[22:23]
	v_fma_f64 v[0:1], v[0:1], s[2:3], v[8:9]
	v_add_f64 v[16:17], v[18:19], v[0:1]
	v_add_f64 v[8:9], v[16:17], -v[18:19]
	v_add_f64 v[18:19], v[0:1], -v[8:9]
.LBB0_74:
	s_or_saveexec_b32 s0, s0
	v_mul_f64 v[8:9], s[8:9], s[8:9]
	s_xor_b32 exec_lo, exec_lo, s0
	s_cbranch_execz .LBB0_76
; %bb.75:
	v_mov_b32_e32 v2, v114
	v_mov_b32_e32 v3, v115
	s_mov_b32 s2, 0x6dc9c883
	s_mov_b32 s3, 0x3fe45f30
	;; [unrolled: 1-line block ×4, first 2 shown]
	v_mul_f64 v[0:1], |v[2:3]|, s[2:3]
	s_mov_b32 s2, 0x54442d18
	s_mov_b32 s3, 0xbff921fb
	v_rndne_f64_e32 v[0:1], v[0:1]
	v_fma_f64 v[16:17], v[0:1], s[2:3], |v[2:3]|
	v_mul_f64 v[18:19], v[0:1], s[4:5]
	s_mov_b32 s2, 0x252049c0
	s_mov_b32 s3, 0xb97b839a
	v_cvt_i32_f64_e32 v72, v[0:1]
	v_fma_f64 v[52:53], v[0:1], s[4:5], v[16:17]
	v_add_f64 v[22:23], v[16:17], v[18:19]
	s_mov_b32 s5, 0x3c91a626
	v_add_f64 v[16:17], v[16:17], -v[22:23]
	v_add_f64 v[22:23], v[22:23], -v[52:53]
	v_add_f64 v[16:17], v[16:17], v[18:19]
	v_fma_f64 v[18:19], v[0:1], s[4:5], v[18:19]
	v_add_f64 v[16:17], v[22:23], v[16:17]
	v_add_f64 v[16:17], v[16:17], -v[18:19]
	v_fma_f64 v[18:19], v[0:1], s[2:3], v[16:17]
	v_add_f64 v[16:17], v[52:53], v[18:19]
	v_add_f64 v[22:23], v[16:17], -v[52:53]
	v_add_f64 v[18:19], v[18:19], -v[22:23]
.LBB0_76:
	s_or_b32 exec_lo, exec_lo, s0
	v_mul_f64 v[0:1], v[20:21], v[20:21]
	s_mov_b32 s4, 0x9037ab78
	s_mov_b32 s6, 0x46cc5e42
	;; [unrolled: 1-line block ×21, first 2 shown]
	v_mul_f64 v[22:23], v[0:1], 0.5
	v_fma_f64 v[56:57], v[0:1], s[6:7], s[4:5]
	s_mov_b32 s27, 0x3f811111
	s_mov_b32 s29, 0xbfc55555
	;; [unrolled: 1-line block ×3, first 2 shown]
	v_mov_b32_e32 v75, v5
	v_mov_b32_e32 v74, v4
	v_and_b32_e32 v2, 1, v93
	v_lshlrev_b32_e32 v4, 30, v94
	s_mov_b32 s39, 0x3fe55555
	s_mov_b32 s38, s16
	v_cmp_class_f64_e64 s2, v[74:75], 0x1f8
	v_bfi_b32 v75, 0x7fffffff, v75, v31
	buffer_store_dword v74, off, s[100:103], 0 offset:144 ; 4-byte Folded Spill
	buffer_store_dword v75, off, s[100:103], 0 offset:148 ; 4-byte Folded Spill
	v_cmp_eq_u32_e32 vcc_lo, 0, v2
	v_lshlrev_b32_e32 v2, 30, v93
	s_mov_b32 s40, 0x968915a9
	s_mov_b32 s42, 0x4222de17
	v_add_f64 v[52:53], -v[22:23], 1.0
	v_fma_f64 v[56:57], v[0:1], v[56:57], s[10:11]
	v_xor_b32_e32 v2, s31, v2
	s_mov_b32 s41, 0x3fba6564
	s_mov_b32 s43, 0x3fbdee67
	;; [unrolled: 1-line block ×4, first 2 shown]
	v_and_b32_e32 v2, 0x80000000, v2
	s_mov_b32 s45, 0x3fbe25e4
	s_mov_b32 s59, 0x3fe62e42
	s_mov_b32 s46, 0x47e6c9c2
	s_mov_b32 s47, 0x3fc110ef
	s_mov_b32 s48, 0xcfa74449
	s_mov_b32 s60, 0x3b39803f
	s_mov_b32 s49, 0x3fc3b13b
	s_mov_b32 s61, 0x3c7abc9e
	s_mov_b32 s50, 0x71bf3c30
	s_mov_b32 s51, 0x3fc745d1
	s_mov_b32 s52, 0x1c7792ce
	s_mov_b32 s53, 0x3fcc71c7
	s_mov_b32 s54, 0x924920da
	s_mov_b32 s55, 0x3fd24924
	v_add_f64 v[54:55], -v[52:53], 1.0
	v_fma_f64 v[56:57], v[0:1], v[56:57], s[12:13]
	s_mov_b32 s56, 0x9999999c
	s_mov_b32 s57, 0x3fd99999
	;; [unrolled: 1-line block ×20, first 2 shown]
	v_add_f64 v[22:23], v[54:55], -v[22:23]
	v_fma_f64 v[56:57], v[0:1], v[56:57], s[14:15]
	v_mul_f64 v[54:55], v[0:1], v[0:1]
	s_mov_b32 s77, 0x3efa0199
	s_mov_b32 s78, 0x14761f6e
	;; [unrolled: 1-line block ×13, first 2 shown]
                                        ; implicit-def: $vgpr127 : SGPR spill to VGPR lane
	s_mov_b32 s92, 0x6dc9c883
	s_mov_b32 s94, 0x33145c00
	;; [unrolled: 1-line block ×6, first 2 shown]
	v_fma_f64 v[22:23], v[20:21], -v[76:77], v[22:23]
	v_fma_f64 v[56:57], v[0:1], v[56:57], s[16:17]
	s_mov_b32 s95, 0xbc91a626
	s_mov_b32 s97, 0xb97b839a
	;; [unrolled: 1-line block ×3, first 2 shown]
	s_mov_b32 vcc_hi, 0x3fd33333
                                        ; implicit-def: $sgpr104
	v_fma_f64 v[22:23], v[54:55], v[56:57], v[22:23]
	v_mul_f64 v[54:55], v[20:21], -v[0:1]
	v_mul_f64 v[56:57], v[76:77], 0.5
	v_add_f64 v[22:23], v[52:53], v[22:23]
	v_fma_f64 v[52:53], v[0:1], s[20:21], s[18:19]
	v_fma_f64 v[52:53], v[0:1], v[52:53], s[22:23]
	v_fma_f64 v[52:53], v[0:1], v[52:53], s[24:25]
	v_fma_f64 v[52:53], v[0:1], v[52:53], s[26:27]
	v_fma_f64 v[52:53], v[54:55], v[52:53], v[56:57]
	v_fma_f64 v[0:1], v[0:1], v[52:53], -v[76:77]
	v_fma_f64 v[0:1], v[54:55], s[28:29], v[0:1]
	v_add_f64 v[0:1], v[20:21], -v[0:1]
	v_mul_f64 v[20:21], v[78:79], v[78:79]
	v_cndmask_b32_e32 v0, v22, v0, vcc_lo
	v_cndmask_b32_e32 v1, v23, v1, vcc_lo
	v_mul_f64 v[22:23], v[20:21], 0.5
	v_fma_f64 v[56:57], v[20:21], s[6:7], s[4:5]
	v_cndmask_b32_e64 v0, 0, v0, s1
	v_xor_b32_e32 v1, v1, v2
	v_and_b32_e32 v2, 1, v94
	v_cndmask_b32_e64 v1, 0x7ff80000, v1, s1
	v_cmp_eq_u32_e32 vcc_lo, 0, v2
	v_add_f64 v[52:53], -v[22:23], 1.0
	v_fma_f64 v[56:57], v[20:21], v[56:57], s[10:11]
	v_xor_b32_e32 v4, v4, v75
	v_and_b32_e32 v4, 0x80000000, v4
	v_add_f64 v[54:55], -v[52:53], 1.0
	v_fma_f64 v[56:57], v[20:21], v[56:57], s[12:13]
	v_add_f64 v[22:23], v[54:55], -v[22:23]
	v_fma_f64 v[56:57], v[20:21], v[56:57], s[14:15]
	v_mul_f64 v[54:55], v[20:21], v[20:21]
	v_fma_f64 v[22:23], v[78:79], -v[80:81], v[22:23]
	v_fma_f64 v[56:57], v[20:21], v[56:57], s[16:17]
	v_fma_f64 v[22:23], v[54:55], v[56:57], v[22:23]
	v_mul_f64 v[54:55], v[78:79], -v[20:21]
	v_mul_f64 v[56:57], v[80:81], 0.5
	v_add_f64 v[22:23], v[52:53], v[22:23]
	v_fma_f64 v[52:53], v[20:21], s[20:21], s[18:19]
	v_fma_f64 v[52:53], v[20:21], v[52:53], s[22:23]
	;; [unrolled: 1-line block ×5, first 2 shown]
	v_fma_f64 v[20:21], v[20:21], v[52:53], -v[80:81]
	v_fma_f64 v[20:21], v[54:55], s[28:29], v[20:21]
	v_add_f64 v[20:21], v[78:79], -v[20:21]
	v_mov_b32_e32 v78, v114
	v_mov_b32_e32 v79, v115
	v_cmp_class_f64_e64 s0, v[78:79], 0x1f8
	v_cndmask_b32_e32 v3, v23, v21, vcc_lo
	v_cndmask_b32_e32 v2, v22, v20, vcc_lo
	v_xor_b32_e32 v3, v3, v4
	v_cndmask_b32_e64 v20, 0, v2, s2
	v_lshlrev_b32_e32 v4, 30, v73
	v_cndmask_b32_e64 v21, 0x7ff80000, v3, s2
	v_xor_b32_e32 v4, v4, v79
	v_mul_f64 v[22:23], -v[0:1], v[20:21]
	v_fma_f64 v[0:1], v[112:113], v[112:113], v[8:9]
	v_and_b32_e32 v4, 0x80000000, v4
	v_mul_f64 v[20:21], v[112:113], v[112:113]
	v_cmp_gt_f64_e32 vcc_lo, 0x10000000, v[0:1]
	v_cndmask_b32_e64 v2, 0, 0x100, vcc_lo
	v_ldexp_f64 v[0:1], v[0:1], v2
	v_cndmask_b32_e64 v2, 0, 0xffffff80, vcc_lo
	v_rsq_f64_e32 v[52:53], v[0:1]
	v_cmp_class_f64_e64 vcc_lo, v[0:1], 0x260
	v_mul_f64 v[54:55], v[0:1], v[52:53]
	v_mul_f64 v[52:53], v[52:53], 0.5
	v_fma_f64 v[56:57], -v[52:53], v[54:55], 0.5
	v_fma_f64 v[54:55], v[54:55], v[56:57], v[54:55]
	v_fma_f64 v[52:53], v[52:53], v[56:57], v[52:53]
	v_fma_f64 v[74:75], -v[54:55], v[54:55], v[0:1]
	v_fma_f64 v[54:55], v[74:75], v[52:53], v[54:55]
	v_fma_f64 v[56:57], -v[54:55], v[54:55], v[0:1]
	v_fma_f64 v[52:53], v[56:57], v[52:53], v[54:55]
	v_ldexp_f64 v[52:53], v[52:53], v2
	v_and_b32_e32 v2, 1, v73
	v_cndmask_b32_e32 v1, v53, v1, vcc_lo
	v_cndmask_b32_e32 v0, v52, v0, vcc_lo
	v_mul_f64 v[52:53], v[6:7], v[6:7]
	v_cmp_eq_u32_e32 vcc_lo, 0, v2
	v_mul_f64 v[54:55], v[52:53], 0.5
	v_fma_f64 v[76:77], v[52:53], s[6:7], s[4:5]
	v_add_f64 v[56:57], -v[54:55], 1.0
	v_fma_f64 v[76:77], v[52:53], v[76:77], s[10:11]
	v_add_f64 v[74:75], -v[56:57], 1.0
	v_fma_f64 v[76:77], v[52:53], v[76:77], s[12:13]
	v_add_f64 v[54:55], v[74:75], -v[54:55]
	v_fma_f64 v[76:77], v[52:53], v[76:77], s[14:15]
	v_mul_f64 v[74:75], v[52:53], v[52:53]
	v_fma_f64 v[54:55], v[6:7], -v[70:71], v[54:55]
	v_fma_f64 v[76:77], v[52:53], v[76:77], s[16:17]
	v_fma_f64 v[54:55], v[74:75], v[76:77], v[54:55]
	v_mul_f64 v[74:75], v[6:7], -v[52:53]
	v_mul_f64 v[76:77], v[70:71], 0.5
	v_add_f64 v[54:55], v[56:57], v[54:55]
	v_fma_f64 v[56:57], v[52:53], s[20:21], s[18:19]
	v_fma_f64 v[56:57], v[52:53], v[56:57], s[22:23]
	;; [unrolled: 1-line block ×5, first 2 shown]
	v_mov_b32_e32 v76, 0
	v_mov_b32_e32 v77, 0x3fe00000
	v_fma_f64 v[52:53], v[52:53], v[56:57], -v[70:71]
	v_fma_f64 v[52:53], v[74:75], s[28:29], v[52:53]
	v_add_f64 v[6:7], v[6:7], -v[52:53]
	v_cndmask_b32_e32 v3, v55, v7, vcc_lo
	v_cndmask_b32_e32 v2, v54, v6, vcc_lo
	v_xor_b32_e32 v3, v3, v4
	v_cndmask_b32_e64 v6, 0, v2, s0
	v_lshlrev_b32_e32 v4, 30, v92
	v_cndmask_b32_e64 v7, 0x7ff80000, v3, s0
	v_and_b32_e32 v3, 1, v92
	v_and_b32_e32 v4, 0x80000000, v4
	v_mul_f64 v[6:7], v[0:1], v[6:7]
	v_div_scale_f64 v[52:53], null, v[6:7], v[6:7], v[22:23]
	v_rcp_f64_e32 v[54:55], v[52:53]
	v_fma_f64 v[56:57], -v[52:53], v[54:55], 1.0
	v_fma_f64 v[54:55], v[54:55], v[56:57], v[54:55]
	v_fma_f64 v[56:57], -v[52:53], v[54:55], 1.0
	v_fma_f64 v[54:55], v[54:55], v[56:57], v[54:55]
	v_div_scale_f64 v[56:57], vcc_lo, v[22:23], v[6:7], v[22:23]
	v_mul_f64 v[70:71], v[56:57], v[54:55]
	v_fma_f64 v[52:53], -v[52:53], v[70:71], v[56:57]
	v_div_fmas_f64 v[52:53], v[52:53], v[54:55], v[70:71]
	v_cmp_eq_u32_e32 vcc_lo, 0, v3
	v_div_fixup_f64 v[22:23], v[52:53], v[6:7], v[22:23]
	v_mul_f64 v[6:7], v[66:67], v[66:67]
	v_mul_f64 v[52:53], v[6:7], 0.5
	v_fma_f64 v[70:71], v[6:7], s[6:7], s[4:5]
	v_add_f64 v[54:55], -v[52:53], 1.0
	v_fma_f64 v[70:71], v[6:7], v[70:71], s[10:11]
	v_add_f64 v[56:57], -v[54:55], 1.0
	v_fma_f64 v[70:71], v[6:7], v[70:71], s[12:13]
	v_add_f64 v[52:53], v[56:57], -v[52:53]
	v_fma_f64 v[70:71], v[6:7], v[70:71], s[14:15]
	v_mul_f64 v[56:57], v[6:7], v[6:7]
	v_fma_f64 v[52:53], v[66:67], -v[68:69], v[52:53]
	v_fma_f64 v[70:71], v[6:7], v[70:71], s[16:17]
	v_fma_f64 v[52:53], v[56:57], v[70:71], v[52:53]
	v_mul_f64 v[56:57], v[66:67], -v[6:7]
	v_mul_f64 v[70:71], v[68:69], 0.5
	v_add_f64 v[52:53], v[54:55], v[52:53]
	v_fma_f64 v[54:55], v[6:7], s[20:21], s[18:19]
	v_fma_f64 v[54:55], v[6:7], v[54:55], s[22:23]
	;; [unrolled: 1-line block ×5, first 2 shown]
	v_fma_f64 v[6:7], v[6:7], v[54:55], -v[68:69]
	v_fma_f64 v[6:7], v[56:57], s[28:29], v[6:7]
	v_add_f64 v[6:7], v[66:67], -v[6:7]
	v_xor_b32_e32 v2, 0x80000000, v7
	v_cndmask_b32_e32 v3, v6, v52, vcc_lo
	v_cndmask_b32_e32 v2, v2, v53, vcc_lo
	v_cndmask_b32_e64 v6, 0, v3, s1
	v_xor_b32_e32 v2, v2, v4
	v_lshlrev_b32_e32 v4, 30, v87
	v_cndmask_b32_e64 v7, 0x7ff80000, v2, s1
	v_and_b32_e32 v2, 1, v87
	v_xor_b32_e32 v4, s31, v4
	v_mul_f64 v[52:53], v[112:113], v[6:7]
	v_mul_f64 v[6:7], v[32:33], v[32:33]
	v_cmp_eq_u32_e32 vcc_lo, 0, v2
	v_and_b32_e32 v4, 0x80000000, v4
	v_mul_f64 v[54:55], v[6:7], 0.5
	v_fma_f64 v[68:69], v[6:7], s[6:7], s[4:5]
	v_add_f64 v[56:57], -v[54:55], 1.0
	v_fma_f64 v[68:69], v[6:7], v[68:69], s[10:11]
	v_add_f64 v[66:67], -v[56:57], 1.0
	v_fma_f64 v[68:69], v[6:7], v[68:69], s[12:13]
	v_add_f64 v[54:55], v[66:67], -v[54:55]
	v_fma_f64 v[68:69], v[6:7], v[68:69], s[14:15]
	v_mul_f64 v[66:67], v[6:7], v[6:7]
	v_fma_f64 v[54:55], v[32:33], -v[46:47], v[54:55]
	v_fma_f64 v[68:69], v[6:7], v[68:69], s[16:17]
	v_fma_f64 v[54:55], v[66:67], v[68:69], v[54:55]
	v_mul_f64 v[66:67], v[32:33], -v[6:7]
	v_mul_f64 v[68:69], v[46:47], 0.5
	v_add_f64 v[54:55], v[56:57], v[54:55]
	v_fma_f64 v[56:57], v[6:7], s[20:21], s[18:19]
	v_fma_f64 v[56:57], v[6:7], v[56:57], s[22:23]
	;; [unrolled: 1-line block ×5, first 2 shown]
	v_fma_f64 v[6:7], v[6:7], v[56:57], -v[46:47]
	v_fma_f64 v[6:7], v[66:67], s[28:29], v[6:7]
	v_add_f64 v[6:7], v[32:33], -v[6:7]
	v_mul_f64 v[32:33], v[48:49], v[48:49]
	v_cndmask_b32_e32 v2, v54, v6, vcc_lo
	v_mul_f64 v[46:47], v[32:33], 0.5
	v_fma_f64 v[66:67], v[32:33], s[6:7], s[4:5]
	v_cndmask_b32_e32 v3, v55, v7, vcc_lo
	v_cndmask_b32_e64 v6, 0, v2, s1
	v_xor_b32_e32 v3, v3, v4
	v_lshlrev_b32_e32 v4, 30, v88
	v_cndmask_b32_e64 v7, 0x7ff80000, v3, s1
	v_and_b32_e32 v3, 1, v88
	v_and_b32_e32 v4, 0x80000000, v4
	v_cmp_eq_u32_e32 vcc_lo, 0, v3
	v_add_f64 v[54:55], -v[46:47], 1.0
	v_fma_f64 v[66:67], v[32:33], v[66:67], s[10:11]
	v_add_f64 v[56:57], -v[54:55], 1.0
	v_fma_f64 v[66:67], v[32:33], v[66:67], s[12:13]
	v_add_f64 v[46:47], v[56:57], -v[46:47]
	v_fma_f64 v[66:67], v[32:33], v[66:67], s[14:15]
	v_mul_f64 v[56:57], v[32:33], v[32:33]
	v_fma_f64 v[46:47], v[48:49], -v[50:51], v[46:47]
	v_fma_f64 v[66:67], v[32:33], v[66:67], s[16:17]
	v_fma_f64 v[46:47], v[56:57], v[66:67], v[46:47]
	v_mul_f64 v[56:57], v[48:49], -v[32:33]
	v_mul_f64 v[66:67], v[50:51], 0.5
	v_add_f64 v[46:47], v[54:55], v[46:47]
	v_fma_f64 v[54:55], v[32:33], s[20:21], s[18:19]
	v_fma_f64 v[54:55], v[32:33], v[54:55], s[22:23]
	;; [unrolled: 1-line block ×5, first 2 shown]
	v_fma_f64 v[32:33], v[32:33], v[54:55], -v[50:51]
	v_fma_f64 v[32:33], v[56:57], s[28:29], v[32:33]
	v_add_f64 v[32:33], v[48:49], -v[32:33]
	v_xor_b32_e32 v2, 0x80000000, v33
	v_cndmask_b32_e32 v3, v32, v46, vcc_lo
	v_cndmask_b32_e32 v2, v2, v47, vcc_lo
	v_cndmask_b32_e64 v32, 0, v3, s2
	v_xor_b32_e32 v2, v2, v4
	v_lshlrev_b32_e32 v4, 30, v91
	v_cndmask_b32_e64 v33, 0x7ff80000, v2, s2
	v_and_b32_e32 v2, 1, v91
	v_xor_b32_e32 v4, v4, v79
	s_mov_b32 s2, 0x88e368f1
	s_mov_b32 s3, 0x3ee4f8b5
	v_mul_f64 v[6:7], -v[6:7], v[32:33]
	v_mul_f64 v[32:33], v[62:63], v[62:63]
	v_cmp_eq_u32_e32 vcc_lo, 0, v2
	v_and_b32_e32 v4, 0x80000000, v4
	v_mul_f64 v[46:47], v[32:33], 0.5
	v_fma_f64 v[54:55], v[32:33], s[6:7], s[4:5]
	v_add_f64 v[48:49], -v[46:47], 1.0
	v_fma_f64 v[54:55], v[32:33], v[54:55], s[10:11]
	v_add_f64 v[50:51], -v[48:49], 1.0
	v_fma_f64 v[54:55], v[32:33], v[54:55], s[12:13]
	v_add_f64 v[46:47], v[50:51], -v[46:47]
	v_fma_f64 v[54:55], v[32:33], v[54:55], s[14:15]
	v_mul_f64 v[50:51], v[32:33], v[32:33]
	v_fma_f64 v[46:47], v[62:63], -v[64:65], v[46:47]
	v_fma_f64 v[54:55], v[32:33], v[54:55], s[16:17]
	v_fma_f64 v[46:47], v[50:51], v[54:55], v[46:47]
	v_mul_f64 v[50:51], v[62:63], -v[32:33]
	v_mul_f64 v[54:55], v[64:65], 0.5
	v_add_f64 v[46:47], v[48:49], v[46:47]
	v_fma_f64 v[48:49], v[32:33], s[20:21], s[18:19]
	v_fma_f64 v[48:49], v[32:33], v[48:49], s[22:23]
	;; [unrolled: 1-line block ×5, first 2 shown]
	v_fma_f64 v[32:33], v[32:33], v[48:49], -v[64:65]
	v_mul_f64 v[48:49], v[10:11], v[10:11]
	v_fma_f64 v[32:33], v[50:51], s[28:29], v[32:33]
	v_mul_f64 v[50:51], v[48:49], 0.5
	v_add_f64 v[32:33], v[62:63], -v[32:33]
	v_fma_f64 v[62:63], v[48:49], s[6:7], s[4:5]
	v_add_f64 v[54:55], -v[50:51], 1.0
	v_cndmask_b32_e32 v3, v47, v33, vcc_lo
	v_fma_f64 v[62:63], v[48:49], v[62:63], s[10:11]
	v_add_f64 v[56:57], -v[54:55], 1.0
	v_cndmask_b32_e32 v2, v46, v32, vcc_lo
	v_mul_f64 v[46:47], v[0:1], v[6:7]
	v_xor_b32_e32 v3, v3, v4
	v_lshlrev_b32_e32 v4, 30, v82
	v_cndmask_b32_e64 v32, 0, v2, s0
	v_cndmask_b32_e64 v33, 0x7ff80000, v3, s0
	v_and_b32_e32 v3, 1, v82
	v_and_b32_e32 v4, 0x80000000, v4
	v_cmp_eq_u32_e32 vcc_lo, 0, v3
	v_fma_f64 v[62:63], v[48:49], v[62:63], s[12:13]
	v_add_f64 v[50:51], v[56:57], -v[50:51]
	v_mul_f64 v[56:57], v[48:49], v[48:49]
	v_fma_f64 v[62:63], v[48:49], v[62:63], s[14:15]
	v_fma_f64 v[50:51], v[10:11], -v[12:13], v[50:51]
	v_fma_f64 v[62:63], v[48:49], v[62:63], s[16:17]
	v_fma_f64 v[50:51], v[56:57], v[62:63], v[50:51]
	v_mul_f64 v[56:57], v[10:11], -v[48:49]
	v_mul_f64 v[62:63], v[12:13], 0.5
	v_add_f64 v[50:51], v[54:55], v[50:51]
	v_fma_f64 v[54:55], v[48:49], s[20:21], s[18:19]
	v_fma_f64 v[54:55], v[48:49], v[54:55], s[22:23]
	;; [unrolled: 1-line block ×5, first 2 shown]
	v_fma_f64 v[12:13], v[48:49], v[54:55], -v[12:13]
	v_fma_f64 v[12:13], v[56:57], s[28:29], v[12:13]
	v_add_f64 v[10:11], v[10:11], -v[12:13]
	v_mul_f64 v[12:13], v[14:15], v[14:15]
	v_xor_b32_e32 v2, 0x80000000, v11
	v_mul_f64 v[48:49], v[12:13], 0.5
	v_fma_f64 v[56:57], v[12:13], s[6:7], s[4:5]
	v_cndmask_b32_e32 v3, v10, v50, vcc_lo
	v_cndmask_b32_e32 v2, v2, v51, vcc_lo
	v_cndmask_b32_e64 v10, 0, v3, s0
	v_and_b32_e32 v3, 1, v83
	v_xor_b32_e32 v2, v2, v4
	v_lshlrev_b32_e32 v4, 30, v83
	v_cmp_eq_u32_e32 vcc_lo, 0, v3
	v_cndmask_b32_e64 v11, 0x7ff80000, v2, s0
	v_and_b32_e32 v4, 0x80000000, v4
	v_mul_f64 v[10:11], s[8:9], v[10:11]
	v_add_f64 v[50:51], -v[48:49], 1.0
	v_fma_f64 v[56:57], v[12:13], v[56:57], s[10:11]
	v_add_f64 v[54:55], -v[50:51], 1.0
	v_fma_f64 v[56:57], v[12:13], v[56:57], s[12:13]
	v_add_f64 v[48:49], v[54:55], -v[48:49]
	v_fma_f64 v[56:57], v[12:13], v[56:57], s[14:15]
	v_mul_f64 v[54:55], v[12:13], v[12:13]
	v_fma_f64 v[48:49], v[14:15], -v[24:25], v[48:49]
	v_fma_f64 v[56:57], v[12:13], v[56:57], s[16:17]
	v_fma_f64 v[48:49], v[54:55], v[56:57], v[48:49]
	v_mul_f64 v[54:55], v[14:15], -v[12:13]
	v_mul_f64 v[56:57], v[24:25], 0.5
	v_add_f64 v[48:49], v[50:51], v[48:49]
	v_fma_f64 v[50:51], v[12:13], s[20:21], s[18:19]
	v_fma_f64 v[50:51], v[12:13], v[50:51], s[22:23]
	;; [unrolled: 1-line block ×5, first 2 shown]
	v_fma_f64 v[12:13], v[12:13], v[50:51], -v[24:25]
	v_fma_f64 v[12:13], v[54:55], s[28:29], v[12:13]
	v_mov_b32_e32 v54, v112
	v_mov_b32_e32 v55, v113
	v_add_f64 v[12:13], v[14:15], -v[12:13]
	v_xor_b32_e32 v2, 0x80000000, v13
	v_cndmask_b32_e32 v3, v12, v48, vcc_lo
	v_cndmask_b32_e32 v2, v2, v49, vcc_lo
	v_cndmask_b32_e64 v12, 0, v3, s0
	v_and_b32_e32 v3, 1, v90
	v_xor_b32_e32 v2, v2, v4
	v_lshlrev_b32_e32 v4, 30, v90
	v_cmp_eq_u32_e32 vcc_lo, 0, v3
	v_cndmask_b32_e64 v13, 0x7ff80000, v2, s0
	v_and_b32_e32 v4, 0x80000000, v4
	v_mul_f64 v[12:13], s[8:9], v[12:13]
	v_fma_f64 v[24:25], v[10:11], v[12:13], v[20:21]
	v_mul_f64 v[10:11], v[58:59], v[58:59]
	v_mul_f64 v[12:13], v[10:11], 0.5
	v_fma_f64 v[50:51], v[10:11], s[6:7], s[4:5]
	v_add_f64 v[14:15], -v[12:13], 1.0
	v_fma_f64 v[50:51], v[10:11], v[50:51], s[10:11]
	v_add_f64 v[48:49], -v[14:15], 1.0
	v_fma_f64 v[50:51], v[10:11], v[50:51], s[12:13]
	v_add_f64 v[12:13], v[48:49], -v[12:13]
	v_fma_f64 v[50:51], v[10:11], v[50:51], s[14:15]
	v_mul_f64 v[48:49], v[10:11], v[10:11]
	v_fma_f64 v[12:13], v[58:59], -v[60:61], v[12:13]
	v_fma_f64 v[50:51], v[10:11], v[50:51], s[16:17]
	v_fma_f64 v[12:13], v[48:49], v[50:51], v[12:13]
	v_mul_f64 v[48:49], v[58:59], -v[10:11]
	v_mul_f64 v[50:51], v[60:61], 0.5
	v_add_f64 v[12:13], v[14:15], v[12:13]
	v_fma_f64 v[14:15], v[10:11], s[20:21], s[18:19]
	v_fma_f64 v[14:15], v[10:11], v[14:15], s[22:23]
	;; [unrolled: 1-line block ×5, first 2 shown]
	v_fma_f64 v[10:11], v[10:11], v[14:15], -v[60:61]
	v_fma_f64 v[10:11], v[48:49], s[28:29], v[10:11]
	v_add_f64 v[10:11], v[58:59], -v[10:11]
	v_xor_b32_e32 v2, 0x80000000, v11
	v_cndmask_b32_e32 v3, v10, v12, vcc_lo
	v_cndmask_b32_e32 v2, v2, v13, vcc_lo
	v_cndmask_b32_e64 v10, 0, v3, s0
	v_and_b32_e32 v3, 1, v85
	v_xor_b32_e32 v2, v2, v4
	v_lshlrev_b32_e32 v4, 30, v85
	v_cndmask_b32_e64 v11, 0x7ff80000, v2, s0
	v_and_b32_e32 v4, 0x80000000, v4
	v_mul_f64 v[10:11], v[46:47], v[10:11]
	v_fma_f64 v[10:11], v[52:53], v[32:33], v[10:11]
	v_div_scale_f64 v[12:13], null, v[24:25], v[24:25], -v[10:11]
	v_rcp_f64_e32 v[14:15], v[12:13]
	v_fma_f64 v[32:33], -v[12:13], v[14:15], 1.0
	v_fma_f64 v[14:15], v[14:15], v[32:33], v[14:15]
	v_fma_f64 v[32:33], -v[12:13], v[14:15], 1.0
	v_fma_f64 v[14:15], v[14:15], v[32:33], v[14:15]
	v_div_scale_f64 v[32:33], vcc_lo, -v[10:11], v[24:25], -v[10:11]
	v_mul_f64 v[46:47], v[32:33], v[14:15]
	v_fma_f64 v[12:13], -v[12:13], v[46:47], v[32:33]
	v_div_fmas_f64 v[12:13], v[12:13], v[14:15], v[46:47]
	v_cmp_eq_u32_e32 vcc_lo, 0, v3
	v_div_fixup_f64 v[32:33], v[12:13], v[24:25], -v[10:11]
	v_mul_f64 v[12:13], v[36:37], v[36:37]
	v_mul_f64 v[10:11], v[0:1], v[0:1]
	;; [unrolled: 1-line block ×3, first 2 shown]
	v_mul_f64 v[14:15], v[12:13], 0.5
	v_fma_f64 v[50:51], v[12:13], s[6:7], s[4:5]
	v_mul_f64 v[0:1], v[0:1], v[6:7]
	v_add_f64 v[46:47], -v[14:15], 1.0
	v_fma_f64 v[50:51], v[12:13], v[50:51], s[10:11]
	v_add_f64 v[48:49], -v[46:47], 1.0
	v_fma_f64 v[50:51], v[12:13], v[50:51], s[12:13]
	v_add_f64 v[14:15], v[48:49], -v[14:15]
	v_fma_f64 v[50:51], v[12:13], v[50:51], s[14:15]
	v_mul_f64 v[48:49], v[12:13], v[12:13]
	v_fma_f64 v[14:15], v[36:37], -v[38:39], v[14:15]
	v_fma_f64 v[50:51], v[12:13], v[50:51], s[16:17]
	v_fma_f64 v[14:15], v[48:49], v[50:51], v[14:15]
	v_mul_f64 v[48:49], v[36:37], -v[12:13]
	v_mul_f64 v[50:51], v[38:39], 0.5
	v_add_f64 v[14:15], v[46:47], v[14:15]
	v_fma_f64 v[46:47], v[12:13], s[20:21], s[18:19]
	v_fma_f64 v[46:47], v[12:13], v[46:47], s[22:23]
	;; [unrolled: 1-line block ×5, first 2 shown]
	v_fma_f64 v[12:13], v[12:13], v[46:47], -v[38:39]
	v_fma_f64 v[12:13], v[48:49], s[28:29], v[12:13]
	v_add_f64 v[12:13], v[36:37], -v[12:13]
	v_xor_b32_e32 v2, 0x80000000, v13
	v_cndmask_b32_e32 v3, v12, v14, vcc_lo
	v_cndmask_b32_e32 v2, v2, v15, vcc_lo
	v_cndmask_b32_e64 v12, 0, v3, s1
	v_and_b32_e32 v3, 1, v86
	v_xor_b32_e32 v2, v2, v4
	v_lshlrev_b32_e32 v4, 30, v86
	v_cmp_eq_u32_e32 vcc_lo, 0, v3
	v_cndmask_b32_e64 v13, 0x7ff80000, v2, s1
	v_and_b32_e32 v4, 0x80000000, v4
	v_mul_f64 v[10:11], v[10:11], v[12:13]
	v_mul_f64 v[12:13], v[40:41], v[40:41]
	v_mul_f64 v[14:15], v[12:13], 0.5
	v_fma_f64 v[46:47], v[12:13], s[6:7], s[4:5]
	v_add_f64 v[36:37], -v[14:15], 1.0
	v_fma_f64 v[46:47], v[12:13], v[46:47], s[10:11]
	v_add_f64 v[38:39], -v[36:37], 1.0
	v_fma_f64 v[46:47], v[12:13], v[46:47], s[12:13]
	v_add_f64 v[14:15], v[38:39], -v[14:15]
	v_fma_f64 v[46:47], v[12:13], v[46:47], s[14:15]
	v_mul_f64 v[38:39], v[12:13], v[12:13]
	v_fma_f64 v[14:15], v[40:41], -v[42:43], v[14:15]
	v_fma_f64 v[46:47], v[12:13], v[46:47], s[16:17]
	v_fma_f64 v[14:15], v[38:39], v[46:47], v[14:15]
	v_mul_f64 v[38:39], v[40:41], -v[12:13]
	v_mul_f64 v[46:47], v[42:43], 0.5
	v_add_f64 v[14:15], v[36:37], v[14:15]
	v_fma_f64 v[36:37], v[12:13], s[20:21], s[18:19]
	v_fma_f64 v[36:37], v[12:13], v[36:37], s[22:23]
	;; [unrolled: 1-line block ×5, first 2 shown]
	v_fma_f64 v[12:13], v[12:13], v[36:37], -v[42:43]
	v_fma_f64 v[12:13], v[38:39], s[28:29], v[12:13]
	v_add_f64 v[12:13], v[40:41], -v[12:13]
	v_xor_b32_e32 v2, 0x80000000, v13
	v_cndmask_b32_e32 v3, v12, v14, vcc_lo
	v_cndmask_b32_e32 v2, v2, v15, vcc_lo
	v_mul_f64 v[14:15], v[34:35], v[34:35]
	v_cndmask_b32_e64 v12, 0, v3, s0
	v_xor_b32_e32 v2, v2, v4
	v_lshlrev_b32_e32 v4, 30, v84
	v_cndmask_b32_e64 v13, 0x7ff80000, v2, s0
	v_and_b32_e32 v2, 1, v84
	v_xor_b32_e32 v4, v4, v79
	v_mul_f64 v[10:11], v[10:11], v[12:13]
	v_cmp_eq_u32_e32 vcc_lo, 0, v2
	v_and_b32_e32 v4, 0x80000000, v4
	v_mul_f64 v[6:7], v[14:15], 0.5
	v_fma_f64 v[38:39], v[14:15], s[6:7], s[4:5]
	v_add_f64 v[12:13], -v[6:7], 1.0
	v_fma_f64 v[38:39], v[14:15], v[38:39], s[10:11]
	v_add_f64 v[36:37], -v[12:13], 1.0
	v_fma_f64 v[38:39], v[14:15], v[38:39], s[12:13]
	v_add_f64 v[6:7], v[36:37], -v[6:7]
	v_fma_f64 v[38:39], v[14:15], v[38:39], s[14:15]
	v_mul_f64 v[36:37], v[14:15], v[14:15]
	v_fma_f64 v[6:7], v[34:35], -v[44:45], v[6:7]
	v_fma_f64 v[38:39], v[14:15], v[38:39], s[16:17]
	v_fma_f64 v[6:7], v[36:37], v[38:39], v[6:7]
	v_mul_f64 v[38:39], v[44:45], 0.5
	v_add_f64 v[6:7], v[12:13], v[6:7]
	v_fma_f64 v[12:13], v[14:15], s[20:21], s[18:19]
	v_fma_f64 v[12:13], v[14:15], v[12:13], s[22:23]
	;; [unrolled: 1-line block ×4, first 2 shown]
	v_mul_f64 v[12:13], v[34:35], -v[14:15]
	v_fma_f64 v[36:37], v[12:13], v[36:37], v[38:39]
	v_fma_f64 v[14:15], v[14:15], v[36:37], -v[44:45]
	v_fma_f64 v[12:13], v[12:13], s[28:29], v[14:15]
	v_add_f64 v[12:13], v[34:35], -v[12:13]
	v_cndmask_b32_e32 v3, v7, v13, vcc_lo
	v_cndmask_b32_e32 v2, v6, v12, vcc_lo
	v_xor_b32_e32 v3, v3, v4
	v_cndmask_b32_e64 v6, 0, v2, s0
	v_cndmask_b32_e64 v7, 0x7ff80000, v3, s0
	v_fma_f64 v[0:1], v[0:1], v[6:7], -v[10:11]
	v_div_scale_f64 v[6:7], null, v[24:25], v[24:25], -v[0:1]
	v_rcp_f64_e32 v[10:11], v[6:7]
	v_fma_f64 v[12:13], -v[6:7], v[10:11], 1.0
	v_fma_f64 v[10:11], v[10:11], v[12:13], v[10:11]
	v_fma_f64 v[12:13], -v[6:7], v[10:11], 1.0
	v_fma_f64 v[10:11], v[10:11], v[12:13], v[10:11]
	v_div_scale_f64 v[12:13], vcc_lo, -v[0:1], v[24:25], -v[0:1]
	v_mul_f64 v[14:15], v[12:13], v[10:11]
	v_fma_f64 v[6:7], -v[6:7], v[14:15], v[12:13]
	v_div_fmas_f64 v[6:7], v[6:7], v[10:11], v[14:15]
	v_div_fixup_f64 v[34:35], v[6:7], v[24:25], -v[0:1]
	v_add_f64 v[0:1], -v[8:9], 1.0
	v_cmp_gt_f64_e32 vcc_lo, 0x10000000, v[0:1]
	s_and_b32 s1, vcc_lo, exec_lo
	s_cselect_b32 s1, 0x100, 0
	v_ldexp_f64 v[6:7], v[0:1], s1
	s_cselect_b32 s1, 0xffffff80, 0
	v_rsq_f64_e32 v[10:11], v[6:7]
	v_cmp_class_f64_e64 vcc_lo, v[6:7], 0x260
	v_mul_f64 v[12:13], v[6:7], v[10:11]
	v_mul_f64 v[10:11], v[10:11], 0.5
	v_fma_f64 v[14:15], -v[10:11], v[12:13], 0.5
	v_fma_f64 v[12:13], v[12:13], v[14:15], v[12:13]
	v_fma_f64 v[10:11], v[10:11], v[14:15], v[10:11]
	v_fma_f64 v[36:37], -v[12:13], v[12:13], v[6:7]
	v_fma_f64 v[12:13], v[36:37], v[10:11], v[12:13]
	v_fma_f64 v[14:15], -v[12:13], v[12:13], v[6:7]
	v_fma_f64 v[10:11], v[14:15], v[10:11], v[12:13]
	v_ldexp_f64 v[10:11], v[10:11], s1
	v_cndmask_b32_e32 v7, v11, v7, vcc_lo
	v_cndmask_b32_e32 v6, v10, v6, vcc_lo
	v_cmp_eq_f64_e32 vcc_lo, 1.0, v[0:1]
	v_add_f64 v[6:7], v[6:7], 1.0
	s_and_b32 s1, vcc_lo, exec_lo
	v_add_f64 v[2:3], v[6:7], s[2:3]
	v_frexp_mant_f64_e64 v[6:7], |v[0:1]|
	buffer_store_dword v2, off, s[100:103], 0 offset:168 ; 4-byte Folded Spill
	buffer_store_dword v3, off, s[100:103], 0 offset:172 ; 4-byte Folded Spill
	v_cmp_gt_f64_e32 vcc_lo, s[38:39], v[6:7]
	v_frexp_exp_i32_f64_e32 v2, v[0:1]
	s_cselect_b32 s3, s30, 0x3fd55555
	s_cselect_b32 s2, 0, 0x55555555
	v_cndmask_b32_e64 v3, 0, 1, vcc_lo
	v_subrev_co_ci_u32_e64 v2, null, 0, v2, vcc_lo
	v_ldexp_f64 v[6:7], v[6:7], v3
	v_mov_b32_e32 v3, 0
	v_mov_b32_e32 v4, 0
	buffer_store_dword v3, off, s[100:103], 0 offset:152 ; 4-byte Folded Spill
	buffer_store_dword v4, off, s[100:103], 0 offset:156 ; 4-byte Folded Spill
	v_mov_b32_e32 v4, v114
	v_mov_b32_e32 v5, v115
	v_add_f64 v[12:13], v[6:7], 1.0
	v_add_f64 v[10:11], v[6:7], -1.0
	v_add_f64 v[14:15], v[12:13], -1.0
	v_add_f64 v[6:7], v[6:7], -v[14:15]
	v_rcp_f64_e32 v[14:15], v[12:13]
	v_fma_f64 v[36:37], -v[12:13], v[14:15], 1.0
	v_fma_f64 v[14:15], v[36:37], v[14:15], v[14:15]
	v_fma_f64 v[36:37], -v[12:13], v[14:15], 1.0
	v_fma_f64 v[14:15], v[36:37], v[14:15], v[14:15]
	v_mul_f64 v[36:37], v[10:11], v[14:15]
	v_mul_f64 v[38:39], v[12:13], v[36:37]
	v_fma_f64 v[12:13], v[36:37], v[12:13], -v[38:39]
	v_fma_f64 v[6:7], v[36:37], v[6:7], v[12:13]
	v_add_f64 v[12:13], v[38:39], v[6:7]
	v_add_f64 v[40:41], v[10:11], -v[12:13]
	v_add_f64 v[38:39], v[12:13], -v[38:39]
	;; [unrolled: 1-line block ×4, first 2 shown]
	v_cvt_f64_i32_e32 v[38:39], v2
	v_add_f64 v[10:11], v[10:11], -v[12:13]
	v_add_f64 v[6:7], v[6:7], v[10:11]
	v_add_f64 v[6:7], v[40:41], v[6:7]
	v_mul_f64 v[40:41], v[38:39], s[58:59]
	v_mul_f64 v[6:7], v[14:15], v[6:7]
	v_fma_f64 v[42:43], v[38:39], s[58:59], -v[40:41]
	v_add_f64 v[10:11], v[36:37], v[6:7]
	v_fma_f64 v[38:39], v[38:39], s[60:61], v[42:43]
	v_add_f64 v[12:13], v[10:11], -v[36:37]
	v_add_f64 v[42:43], v[40:41], v[38:39]
	v_add_f64 v[6:7], v[6:7], -v[12:13]
	v_mul_f64 v[12:13], v[10:11], v[10:11]
	v_add_f64 v[40:41], v[42:43], -v[40:41]
	v_add_f64 v[36:37], v[6:7], v[6:7]
	v_fma_f64 v[14:15], v[10:11], v[10:11], -v[12:13]
	v_ldexp_f64 v[44:45], v[6:7], 1
	v_add_f64 v[38:39], v[38:39], -v[40:41]
	v_ldexp_f64 v[40:41], v[10:11], 1
	v_fma_f64 v[14:15], v[10:11], v[36:37], v[14:15]
	v_add_f64 v[36:37], v[12:13], v[14:15]
	v_add_f64 v[12:13], v[36:37], -v[12:13]
	v_mul_f64 v[46:47], v[10:11], v[36:37]
	v_add_f64 v[12:13], v[14:15], -v[12:13]
	v_fma_f64 v[14:15], v[36:37], s[42:43], s[40:41]
	v_fma_f64 v[48:49], v[36:37], v[10:11], -v[46:47]
	v_fma_f64 v[14:15], v[36:37], v[14:15], s[44:45]
	v_fma_f64 v[6:7], v[36:37], v[6:7], v[48:49]
	;; [unrolled: 1-line block ×5, first 2 shown]
	v_add_f64 v[10:11], v[46:47], v[6:7]
	v_fma_f64 v[14:15], v[36:37], v[14:15], s[50:51]
	v_add_f64 v[46:47], v[10:11], -v[46:47]
	v_fma_f64 v[14:15], v[36:37], v[14:15], s[52:53]
	v_add_f64 v[6:7], v[6:7], -v[46:47]
	v_fma_f64 v[14:15], v[36:37], v[14:15], s[54:55]
	v_fma_f64 v[14:15], v[36:37], v[14:15], s[56:57]
	v_mul_f64 v[46:47], v[36:37], v[14:15]
	v_fma_f64 v[36:37], v[36:37], v[14:15], -v[46:47]
	v_fma_f64 v[12:13], v[12:13], v[14:15], v[36:37]
	v_add_f64 v[14:15], v[46:47], v[12:13]
	v_add_f64 v[36:37], v[14:15], -v[46:47]
	v_add_f64 v[12:13], v[12:13], -v[36:37]
	v_add_f64 v[36:37], v[14:15], s[38:39]
	v_add_f64 v[12:13], v[12:13], s[62:63]
	;; [unrolled: 1-line block ×3, first 2 shown]
	v_add_f64 v[14:15], v[14:15], -v[46:47]
	v_add_f64 v[12:13], v[12:13], v[14:15]
	v_add_f64 v[14:15], v[36:37], v[12:13]
	v_add_f64 v[36:37], v[36:37], -v[14:15]
	v_add_f64 v[12:13], v[12:13], v[36:37]
	v_mul_f64 v[36:37], v[10:11], v[14:15]
	v_fma_f64 v[46:47], v[10:11], v[14:15], -v[36:37]
	v_fma_f64 v[10:11], v[10:11], v[12:13], v[46:47]
	v_fma_f64 v[6:7], v[6:7], v[14:15], v[10:11]
	v_add_f64 v[10:11], v[36:37], v[6:7]
	v_add_f64 v[12:13], v[10:11], -v[36:37]
	v_add_f64 v[6:7], v[6:7], -v[12:13]
	v_add_f64 v[12:13], v[40:41], v[10:11]
	v_add_f64 v[6:7], v[44:45], v[6:7]
	v_add_f64 v[14:15], v[12:13], -v[40:41]
	v_add_f64 v[10:11], v[10:11], -v[14:15]
	v_add_f64 v[6:7], v[6:7], v[10:11]
	;; [unrolled: 4-line block ×3, first 2 shown]
	v_add_f64 v[14:15], v[12:13], -v[42:43]
	v_add_f64 v[36:37], v[12:13], -v[14:15]
	;; [unrolled: 1-line block ×3, first 2 shown]
	v_add_f64 v[14:15], v[38:39], v[6:7]
	v_add_f64 v[36:37], v[42:43], -v[36:37]
	v_add_f64 v[10:11], v[10:11], v[36:37]
	v_add_f64 v[36:37], v[14:15], -v[38:39]
	;; [unrolled: 2-line block ×3, first 2 shown]
	v_add_f64 v[6:7], v[6:7], -v[36:37]
	v_add_f64 v[14:15], v[12:13], v[10:11]
	v_add_f64 v[38:39], v[38:39], -v[40:41]
	v_add_f64 v[12:13], v[14:15], -v[12:13]
	v_add_f64 v[6:7], v[6:7], v[38:39]
	v_add_f64 v[10:11], v[10:11], -v[12:13]
	v_add_f64 v[6:7], v[6:7], v[10:11]
	v_add_f64 v[10:11], v[14:15], v[6:7]
	v_add_f64 v[12:13], v[10:11], -v[14:15]
	v_add_f64 v[6:7], v[6:7], -v[12:13]
	v_mul_f64 v[12:13], s[2:3], v[10:11]
	v_fma_f64 v[10:11], s[2:3], v[10:11], -v[12:13]
	v_cmp_class_f64_e64 vcc_lo, v[12:13], 0x204
	v_fma_f64 v[6:7], s[2:3], v[6:7], v[10:11]
	v_add_f64 v[10:11], v[12:13], v[6:7]
	v_add_f64 v[14:15], v[10:11], -v[12:13]
	v_cndmask_b32_e32 v11, v11, v13, vcc_lo
	v_cndmask_b32_e32 v10, v10, v12, vcc_lo
	v_mul_f64 v[12:13], v[10:11], s[64:65]
	v_cmp_neq_f64_e64 vcc_lo, 0x7ff00000, |v[10:11]|
	v_cmp_ngt_f64_e64 s1, 0xc090cc00, v[10:11]
	v_add_f64 v[6:7], v[6:7], -v[14:15]
	v_rndne_f64_e32 v[12:13], v[12:13]
	v_cndmask_b32_e32 v7, 0, v7, vcc_lo
	v_cndmask_b32_e32 v6, 0, v6, vcc_lo
	v_cmp_nlt_f64_e32 vcc_lo, 0x40900000, v[10:11]
	v_fma_f64 v[14:15], v[12:13], s[80:81], v[10:11]
	v_cvt_i32_f64_e32 v2, v[12:13]
	s_and_b32 s36, s1, vcc_lo
	s_and_b32 s36, s36, exec_lo
	v_fma_f64 v[14:15], v[12:13], s[68:69], v[14:15]
	v_fma_f64 v[36:37], v[14:15], s[72:73], s[70:71]
	;; [unrolled: 1-line block ×10, first 2 shown]
	v_fma_f64 v[36:37], v[14:15], v[36:37], 1.0
	v_fma_f64 v[14:15], v[14:15], v[36:37], 1.0
	v_ldexp_f64 v[12:13], v[14:15], v2
	v_readfirstlane_b32 s31, v12
	v_cndmask_b32_e32 v2, 0x7ff00000, v13, vcc_lo
	s_cselect_b32 s31, s31, 0
	v_cndmask_b32_e64 v11, 0, v2, s1
	v_mov_b32_e32 v10, s31
	v_fma_f64 v[6:7], v[10:11], v[6:7], v[10:11]
	v_cmp_class_f64_e64 vcc_lo, v[10:11], 0x204
	v_readfirstlane_b32 s1, v6
	v_cndmask_b32_e32 v6, v7, v11, vcc_lo
	v_trunc_f64_e32 v[10:11], s[2:3]
	s_and_b32 s36, vcc_lo, exec_lo
	s_cselect_b32 s31, s31, s1
	v_cmp_eq_f64_e32 vcc_lo, s[2:3], v[10:11]
	v_mul_f64 v[10:11], s[2:3], 0.5
	v_cmp_gt_f64_e64 s2, 0, v[0:1]
	v_trunc_f64_e32 v[12:13], v[10:11]
	v_cmp_neq_f64_e64 s1, v[12:13], v[10:11]
	s_and_b32 s1, vcc_lo, s1
	s_and_b32 s3, vcc_lo, exec_lo
	v_cndmask_b32_e64 v2, 0x3ff00000, v1, s1
	s_cselect_b32 s3, s31, 0
	s_and_b32 s36, s2, exec_lo
	s_cselect_b32 s3, s3, s31
	v_bfi_b32 v2, 0x7fffffff, v6, v2
	v_add_f64 v[6:7], s[8:9], 1.0
	v_cndmask_b32_e32 v3, 0x7ff80000, v2, vcc_lo
	v_cmp_eq_f64_e32 vcc_lo, 0, v[0:1]
	v_cndmask_b32_e64 v2, v2, v3, s2
	v_cmp_class_f64_e64 s2, v[0:1], 0x204
	v_cndmask_b32_e64 v3, 0, v1, s1
	v_frexp_mant_f64_e64 v[10:11], |v[6:7]|
	s_or_b32 s2, vcc_lo, s2
	s_and_b32 s31, vcc_lo, exec_lo
	v_cmp_o_f64_e32 vcc_lo, v[0:1], v[0:1]
	s_cselect_b32 s31, 0, 0x7ff00000
	s_and_b32 s1, s2, exec_lo
	v_bfi_b32 v3, 0x7fffffff, s31, v3
	s_cselect_b32 s1, 0, s3
	v_cndmask_b32_e64 v2, v2, v3, s2
	s_and_b32 s2, vcc_lo, exec_lo
	v_cndmask_b32_e32 v1, 0x7ff80000, v2, vcc_lo
	v_cmp_eq_f64_e32 vcc_lo, 1.0, v[6:7]
	s_cselect_b32 s1, s1, 0
	v_frexp_exp_i32_f64_e32 v2, v[6:7]
	v_mov_b32_e32 v0, s1
	s_and_b32 s1, vcc_lo, exec_lo
	v_cmp_gt_f64_e32 vcc_lo, s[38:39], v[10:11]
	s_cselect_b32 s3, s30, 0x3fd55555
	s_cselect_b32 s2, 0, 0x55555555
	v_cndmask_b32_e64 v3, 0, 1, vcc_lo
	v_subrev_co_ci_u32_e64 v2, null, 0, v2, vcc_lo
	v_ldexp_f64 v[10:11], v[10:11], v3
	v_add_f64 v[14:15], v[10:11], 1.0
	v_add_f64 v[12:13], v[10:11], -1.0
	v_add_f64 v[36:37], v[14:15], -1.0
	v_add_f64 v[10:11], v[10:11], -v[36:37]
	v_rcp_f64_e32 v[36:37], v[14:15]
	v_fma_f64 v[38:39], -v[14:15], v[36:37], 1.0
	v_fma_f64 v[36:37], v[38:39], v[36:37], v[36:37]
	v_fma_f64 v[38:39], -v[14:15], v[36:37], 1.0
	v_fma_f64 v[36:37], v[38:39], v[36:37], v[36:37]
	v_mul_f64 v[38:39], v[12:13], v[36:37]
	v_mul_f64 v[40:41], v[14:15], v[38:39]
	v_fma_f64 v[14:15], v[38:39], v[14:15], -v[40:41]
	v_fma_f64 v[10:11], v[38:39], v[10:11], v[14:15]
	v_add_f64 v[14:15], v[40:41], v[10:11]
	v_add_f64 v[42:43], v[12:13], -v[14:15]
	v_add_f64 v[40:41], v[14:15], -v[40:41]
	;; [unrolled: 1-line block ×4, first 2 shown]
	v_cvt_f64_i32_e32 v[40:41], v2
	v_add_f64 v[12:13], v[12:13], -v[14:15]
	v_add_f64 v[10:11], v[10:11], v[12:13]
	v_add_f64 v[10:11], v[42:43], v[10:11]
	v_mul_f64 v[42:43], v[40:41], s[58:59]
	v_mul_f64 v[10:11], v[36:37], v[10:11]
	v_fma_f64 v[44:45], v[40:41], s[58:59], -v[42:43]
	v_add_f64 v[12:13], v[38:39], v[10:11]
	v_fma_f64 v[40:41], v[40:41], s[60:61], v[44:45]
	v_add_f64 v[14:15], v[12:13], -v[38:39]
	v_add_f64 v[44:45], v[42:43], v[40:41]
	v_add_f64 v[10:11], v[10:11], -v[14:15]
	v_mul_f64 v[14:15], v[12:13], v[12:13]
	v_add_f64 v[42:43], v[44:45], -v[42:43]
	v_add_f64 v[38:39], v[10:11], v[10:11]
	v_fma_f64 v[36:37], v[12:13], v[12:13], -v[14:15]
	v_ldexp_f64 v[46:47], v[10:11], 1
	v_add_f64 v[40:41], v[40:41], -v[42:43]
	v_ldexp_f64 v[42:43], v[12:13], 1
	v_fma_f64 v[36:37], v[12:13], v[38:39], v[36:37]
	v_add_f64 v[38:39], v[14:15], v[36:37]
	v_add_f64 v[14:15], v[38:39], -v[14:15]
	v_mul_f64 v[48:49], v[12:13], v[38:39]
	v_add_f64 v[14:15], v[36:37], -v[14:15]
	v_fma_f64 v[36:37], v[38:39], s[42:43], s[40:41]
	v_fma_f64 v[50:51], v[38:39], v[12:13], -v[48:49]
	v_fma_f64 v[36:37], v[38:39], v[36:37], s[44:45]
	v_fma_f64 v[10:11], v[38:39], v[10:11], v[50:51]
	;; [unrolled: 1-line block ×5, first 2 shown]
	v_add_f64 v[12:13], v[48:49], v[10:11]
	v_fma_f64 v[36:37], v[38:39], v[36:37], s[50:51]
	v_add_f64 v[48:49], v[12:13], -v[48:49]
	v_fma_f64 v[36:37], v[38:39], v[36:37], s[52:53]
	v_add_f64 v[10:11], v[10:11], -v[48:49]
	v_fma_f64 v[36:37], v[38:39], v[36:37], s[54:55]
	v_fma_f64 v[36:37], v[38:39], v[36:37], s[56:57]
	v_mul_f64 v[48:49], v[38:39], v[36:37]
	v_fma_f64 v[38:39], v[38:39], v[36:37], -v[48:49]
	v_fma_f64 v[14:15], v[14:15], v[36:37], v[38:39]
	v_add_f64 v[36:37], v[48:49], v[14:15]
	v_add_f64 v[38:39], v[36:37], -v[48:49]
	v_add_f64 v[14:15], v[14:15], -v[38:39]
	v_add_f64 v[38:39], v[36:37], s[38:39]
	v_add_f64 v[14:15], v[14:15], s[62:63]
	;; [unrolled: 1-line block ×3, first 2 shown]
	v_add_f64 v[36:37], v[36:37], -v[48:49]
	v_add_f64 v[14:15], v[14:15], v[36:37]
	v_add_f64 v[36:37], v[38:39], v[14:15]
	v_add_f64 v[38:39], v[38:39], -v[36:37]
	v_add_f64 v[14:15], v[14:15], v[38:39]
	v_mul_f64 v[38:39], v[12:13], v[36:37]
	v_fma_f64 v[48:49], v[12:13], v[36:37], -v[38:39]
	v_fma_f64 v[12:13], v[12:13], v[14:15], v[48:49]
	v_fma_f64 v[10:11], v[10:11], v[36:37], v[12:13]
	v_add_f64 v[12:13], v[38:39], v[10:11]
	v_add_f64 v[14:15], v[12:13], -v[38:39]
	v_add_f64 v[10:11], v[10:11], -v[14:15]
	v_add_f64 v[14:15], v[42:43], v[12:13]
	v_add_f64 v[10:11], v[46:47], v[10:11]
	v_add_f64 v[36:37], v[14:15], -v[42:43]
	v_add_f64 v[12:13], v[12:13], -v[36:37]
	v_add_f64 v[10:11], v[10:11], v[12:13]
	;; [unrolled: 4-line block ×3, first 2 shown]
	v_add_f64 v[36:37], v[14:15], -v[44:45]
	v_add_f64 v[38:39], v[14:15], -v[36:37]
	;; [unrolled: 1-line block ×3, first 2 shown]
	v_add_f64 v[36:37], v[40:41], v[10:11]
	v_add_f64 v[38:39], v[44:45], -v[38:39]
	v_add_f64 v[12:13], v[12:13], v[38:39]
	v_add_f64 v[38:39], v[36:37], -v[40:41]
	;; [unrolled: 2-line block ×3, first 2 shown]
	v_add_f64 v[10:11], v[10:11], -v[38:39]
	v_add_f64 v[36:37], v[14:15], v[12:13]
	v_add_f64 v[40:41], v[40:41], -v[42:43]
	v_add_f64 v[14:15], v[36:37], -v[14:15]
	v_add_f64 v[10:11], v[10:11], v[40:41]
	v_add_f64 v[12:13], v[12:13], -v[14:15]
	v_add_f64 v[10:11], v[10:11], v[12:13]
	v_add_f64 v[12:13], v[36:37], v[10:11]
	v_add_f64 v[14:15], v[12:13], -v[36:37]
	v_add_f64 v[10:11], v[10:11], -v[14:15]
	v_mul_f64 v[14:15], s[2:3], v[12:13]
	v_fma_f64 v[12:13], s[2:3], v[12:13], -v[14:15]
	v_cmp_class_f64_e64 vcc_lo, v[14:15], 0x204
	v_fma_f64 v[10:11], s[2:3], v[10:11], v[12:13]
	v_add_f64 v[12:13], v[14:15], v[10:11]
	v_add_f64 v[36:37], v[12:13], -v[14:15]
	v_cndmask_b32_e32 v13, v13, v15, vcc_lo
	v_cndmask_b32_e32 v12, v12, v14, vcc_lo
	v_mul_f64 v[14:15], v[12:13], s[64:65]
	v_cmp_neq_f64_e64 vcc_lo, 0x7ff00000, |v[12:13]|
	v_cmp_ngt_f64_e64 s1, 0xc090cc00, v[12:13]
	v_add_f64 v[10:11], v[10:11], -v[36:37]
	v_rndne_f64_e32 v[14:15], v[14:15]
	v_cndmask_b32_e32 v11, 0, v11, vcc_lo
	v_cndmask_b32_e32 v10, 0, v10, vcc_lo
	v_cmp_nlt_f64_e32 vcc_lo, 0x40900000, v[12:13]
	v_fma_f64 v[36:37], v[14:15], s[80:81], v[12:13]
	v_cvt_i32_f64_e32 v2, v[14:15]
	s_and_b32 s36, s1, vcc_lo
	s_and_b32 s36, s36, exec_lo
	v_fma_f64 v[36:37], v[14:15], s[68:69], v[36:37]
	v_fma_f64 v[38:39], v[36:37], s[72:73], s[70:71]
	;; [unrolled: 1-line block ×10, first 2 shown]
	v_fma_f64 v[38:39], v[36:37], v[38:39], 1.0
	v_fma_f64 v[36:37], v[36:37], v[38:39], 1.0
	v_ldexp_f64 v[14:15], v[36:37], v2
	v_readfirstlane_b32 s31, v14
	v_cndmask_b32_e32 v2, 0x7ff00000, v15, vcc_lo
	s_cselect_b32 s31, s31, 0
	v_cndmask_b32_e64 v13, 0, v2, s1
	v_mov_b32_e32 v12, s31
	v_fma_f64 v[10:11], v[12:13], v[10:11], v[12:13]
	v_cmp_class_f64_e64 vcc_lo, v[12:13], 0x204
	v_readfirstlane_b32 s1, v10
	v_cndmask_b32_e32 v2, v11, v13, vcc_lo
	v_trunc_f64_e32 v[10:11], s[2:3]
	s_and_b32 s36, vcc_lo, exec_lo
	s_cselect_b32 s31, s31, s1
	v_cmp_eq_f64_e32 vcc_lo, s[2:3], v[10:11]
	v_mul_f64 v[10:11], s[2:3], 0.5
	v_cmp_gt_f64_e64 s2, 0, v[6:7]
	v_trunc_f64_e32 v[12:13], v[10:11]
	v_cmp_neq_f64_e64 s1, v[12:13], v[10:11]
	s_and_b32 s1, vcc_lo, s1
	s_and_b32 s3, vcc_lo, exec_lo
	v_cndmask_b32_e64 v3, 0x3ff00000, v7, s1
	s_cselect_b32 s3, s31, 0
	s_and_b32 s36, s2, exec_lo
	s_cselect_b32 s3, s3, s31
	s_mov_b32 s36, 0x9999999a
	v_bfi_b32 v2, 0x7fffffff, v2, v3
	s_mov_b32 s37, 0x3fc99999
	v_cndmask_b32_e32 v3, 0x7ff80000, v2, vcc_lo
	v_cmp_eq_f64_e32 vcc_lo, 0, v[6:7]
	v_cndmask_b32_e64 v2, v2, v3, s2
	v_cmp_class_f64_e64 s2, v[6:7], 0x204
	v_cndmask_b32_e64 v3, 0, v7, s1
	s_or_b32 s2, vcc_lo, s2
	s_and_b32 s31, vcc_lo, exec_lo
	v_cmp_o_f64_e32 vcc_lo, v[6:7], v[6:7]
	s_cselect_b32 s31, 0, 0x7ff00000
	s_and_b32 s1, s2, exec_lo
	v_bfi_b32 v3, 0x7fffffff, s31, v3
	s_cselect_b32 s1, 0, s3
	v_cndmask_b32_e64 v2, v2, v3, s2
	s_and_b32 s2, vcc_lo, exec_lo
	s_cselect_b32 s1, s1, 0
	v_cndmask_b32_e32 v7, 0x7ff80000, v2, vcc_lo
	v_mov_b32_e32 v6, s1
	v_fma_f64 v[0:1], v[6:7], v[0:1], 1.0
	v_add_f64 v[6:7], -s[8:9], 1.0
	v_cmp_eq_f64_e32 vcc_lo, 1.0, v[6:7]
	v_frexp_mant_f64_e64 v[10:11], |v[6:7]|
	v_frexp_exp_i32_f64_e32 v2, v[6:7]
	s_and_b32 s1, vcc_lo, exec_lo
	v_cmp_gt_f64_e32 vcc_lo, s[38:39], v[10:11]
	s_cselect_b32 s3, s30, 0x3fd55555
	s_cselect_b32 s2, 0, 0x55555555
	s_mov_b32 s1, s39
	v_writelane_b32 v127, s0, 0
	s_mov_b32 s30, s84
	v_writelane_b32 v127, s1, 1
	;; [unrolled: 2-line block ×3, first 2 shown]
	v_writelane_b32 v127, s1, 3
	s_mov_b32 s1, s69
	v_cndmask_b32_e64 v3, 0, 1, vcc_lo
	v_subrev_co_ci_u32_e64 v2, null, 0, v2, vcc_lo
	v_writelane_b32 v127, s0, 4
	v_ldexp_f64 v[10:11], v[10:11], v3
	v_writelane_b32 v127, s1, 5
	v_writelane_b32 v127, s30, 6
	;; [unrolled: 1-line block ×3, first 2 shown]
	s_mov_b32 s30, s86
	v_writelane_b32 v127, s30, 8
	v_add_f64 v[14:15], v[10:11], 1.0
	v_add_f64 v[12:13], v[10:11], -1.0
	v_writelane_b32 v127, s31, 9
	v_add_f64 v[36:37], v[14:15], -1.0
	v_add_f64 v[10:11], v[10:11], -v[36:37]
	v_rcp_f64_e32 v[36:37], v[14:15]
	v_fma_f64 v[38:39], -v[14:15], v[36:37], 1.0
	v_fma_f64 v[36:37], v[38:39], v[36:37], v[36:37]
	v_fma_f64 v[38:39], -v[14:15], v[36:37], 1.0
	v_fma_f64 v[36:37], v[38:39], v[36:37], v[36:37]
	v_mul_f64 v[38:39], v[12:13], v[36:37]
	v_mul_f64 v[40:41], v[14:15], v[38:39]
	v_fma_f64 v[14:15], v[38:39], v[14:15], -v[40:41]
	v_fma_f64 v[10:11], v[38:39], v[10:11], v[14:15]
	v_add_f64 v[14:15], v[40:41], v[10:11]
	v_add_f64 v[42:43], v[12:13], -v[14:15]
	v_add_f64 v[40:41], v[14:15], -v[40:41]
	;; [unrolled: 1-line block ×4, first 2 shown]
	v_cvt_f64_i32_e32 v[40:41], v2
	v_add_f64 v[12:13], v[12:13], -v[14:15]
	v_add_f64 v[10:11], v[10:11], v[12:13]
	v_add_f64 v[10:11], v[42:43], v[10:11]
	v_mul_f64 v[42:43], v[40:41], s[58:59]
	v_mul_f64 v[10:11], v[36:37], v[10:11]
	v_fma_f64 v[44:45], v[40:41], s[58:59], -v[42:43]
	s_mov_b32 s58, 0xed097b42
	s_mov_b32 s59, 0x3f9e3425
	v_add_f64 v[12:13], v[38:39], v[10:11]
	v_fma_f64 v[40:41], v[40:41], s[60:61], v[44:45]
	s_mov_b32 s60, 0x12f684be
	s_mov_b32 s61, 0x3fa54bda
	v_add_f64 v[14:15], v[12:13], -v[38:39]
	v_add_f64 v[44:45], v[42:43], v[40:41]
	v_add_f64 v[10:11], v[10:11], -v[14:15]
	v_mul_f64 v[14:15], v[12:13], v[12:13]
	v_add_f64 v[42:43], v[44:45], -v[42:43]
	v_add_f64 v[38:39], v[10:11], v[10:11]
	v_fma_f64 v[36:37], v[12:13], v[12:13], -v[14:15]
	v_ldexp_f64 v[46:47], v[10:11], 1
	v_add_f64 v[40:41], v[40:41], -v[42:43]
	v_ldexp_f64 v[42:43], v[12:13], 1
	v_fma_f64 v[36:37], v[12:13], v[38:39], v[36:37]
	v_add_f64 v[38:39], v[14:15], v[36:37]
	v_add_f64 v[14:15], v[38:39], -v[14:15]
	v_mul_f64 v[48:49], v[12:13], v[38:39]
	v_add_f64 v[14:15], v[36:37], -v[14:15]
	v_fma_f64 v[36:37], v[38:39], s[42:43], s[40:41]
	v_fma_f64 v[50:51], v[38:39], v[12:13], -v[48:49]
	s_mov_b32 s42, 0xcccccccd
	s_mov_b32 s43, 0x3fcccccc
	;; [unrolled: 1-line block ×3, first 2 shown]
	v_fma_f64 v[36:37], v[38:39], v[36:37], s[44:45]
	v_fma_f64 v[10:11], v[38:39], v[10:11], v[50:51]
	s_mov_b32 s44, 0x33333333
	s_mov_b32 s45, 0x3fb33333
	v_fma_f64 v[36:37], v[38:39], v[36:37], s[46:47]
	v_fma_f64 v[10:11], v[14:15], v[12:13], v[10:11]
	s_mov_b32 s46, 0x84bda12f
	s_mov_b32 s47, 0xbfca12f6
	v_fma_f64 v[36:37], v[38:39], v[36:37], s[48:49]
	v_add_f64 v[12:13], v[48:49], v[10:11]
	s_mov_b32 s49, 0x3ff4bda1
	v_fma_f64 v[36:37], v[38:39], v[36:37], s[50:51]
	v_add_f64 v[48:49], v[12:13], -v[48:49]
	s_mov_b32 s50, 0x2f684bda
	s_mov_b32 s51, 0xc004bda1
	v_fma_f64 v[36:37], v[38:39], v[36:37], s[52:53]
	v_add_f64 v[10:11], v[10:11], -v[48:49]
	s_mov_b32 s53, 0x3fb99999
	v_fma_f64 v[36:37], v[38:39], v[36:37], s[54:55]
	s_mov_b32 s55, 0x3feccccc
	v_fma_f64 v[36:37], v[38:39], v[36:37], s[56:57]
	s_mov_b32 s56, 0x54442d18
	s_mov_b32 s57, 0xbff921fb
	v_mul_f64 v[48:49], v[38:39], v[36:37]
	v_fma_f64 v[38:39], v[38:39], v[36:37], -v[48:49]
	v_fma_f64 v[14:15], v[14:15], v[36:37], v[38:39]
	v_add_f64 v[36:37], v[48:49], v[14:15]
	v_add_f64 v[38:39], v[36:37], -v[48:49]
	v_add_f64 v[14:15], v[14:15], -v[38:39]
	v_add_f64 v[38:39], v[36:37], s[38:39]
	s_mov_b32 s39, 0x3ff33333
	v_add_f64 v[14:15], v[14:15], s[62:63]
	v_add_f64 v[48:49], v[38:39], s[66:67]
	s_mov_b32 s66, 0x5ed097b4
	s_mov_b32 s62, 0x2e2bb280
	;; [unrolled: 1-line block ×4, first 2 shown]
	v_add_f64 v[36:37], v[36:37], -v[48:49]
	v_add_f64 v[14:15], v[14:15], v[36:37]
	v_add_f64 v[36:37], v[38:39], v[14:15]
	v_add_f64 v[38:39], v[38:39], -v[36:37]
	v_add_f64 v[14:15], v[14:15], v[38:39]
	v_mul_f64 v[38:39], v[12:13], v[36:37]
	v_fma_f64 v[48:49], v[12:13], v[36:37], -v[38:39]
	v_fma_f64 v[12:13], v[12:13], v[14:15], v[48:49]
	v_fma_f64 v[10:11], v[10:11], v[36:37], v[12:13]
	v_add_f64 v[12:13], v[38:39], v[10:11]
	v_add_f64 v[14:15], v[12:13], -v[38:39]
	v_add_f64 v[10:11], v[10:11], -v[14:15]
	v_add_f64 v[14:15], v[42:43], v[12:13]
	v_add_f64 v[10:11], v[46:47], v[10:11]
	v_add_f64 v[36:37], v[14:15], -v[42:43]
	v_add_f64 v[12:13], v[12:13], -v[36:37]
	v_add_f64 v[10:11], v[10:11], v[12:13]
	;; [unrolled: 4-line block ×3, first 2 shown]
	v_add_f64 v[36:37], v[14:15], -v[44:45]
	v_add_f64 v[38:39], v[14:15], -v[36:37]
	;; [unrolled: 1-line block ×3, first 2 shown]
	v_add_f64 v[36:37], v[40:41], v[10:11]
	v_add_f64 v[38:39], v[44:45], -v[38:39]
	v_add_f64 v[12:13], v[12:13], v[38:39]
	v_add_f64 v[38:39], v[36:37], -v[40:41]
	;; [unrolled: 2-line block ×3, first 2 shown]
	v_add_f64 v[10:11], v[10:11], -v[38:39]
	v_add_f64 v[36:37], v[14:15], v[12:13]
	v_add_f64 v[40:41], v[40:41], -v[42:43]
	v_add_f64 v[14:15], v[36:37], -v[14:15]
	v_add_f64 v[10:11], v[10:11], v[40:41]
	v_add_f64 v[12:13], v[12:13], -v[14:15]
	v_add_f64 v[10:11], v[10:11], v[12:13]
	v_add_f64 v[12:13], v[36:37], v[10:11]
	v_add_f64 v[14:15], v[12:13], -v[36:37]
	v_add_f64 v[10:11], v[10:11], -v[14:15]
	v_mul_f64 v[14:15], s[2:3], v[12:13]
	v_fma_f64 v[12:13], s[2:3], v[12:13], -v[14:15]
	v_cmp_class_f64_e64 vcc_lo, v[14:15], 0x204
	v_fma_f64 v[10:11], s[2:3], v[10:11], v[12:13]
	v_add_f64 v[12:13], v[14:15], v[10:11]
	v_add_f64 v[36:37], v[12:13], -v[14:15]
	v_cndmask_b32_e32 v13, v13, v15, vcc_lo
	v_cndmask_b32_e32 v12, v12, v14, vcc_lo
	v_mul_f64 v[14:15], v[12:13], s[64:65]
	v_cmp_neq_f64_e64 vcc_lo, 0x7ff00000, |v[12:13]|
	v_cmp_ngt_f64_e64 s1, 0xc090cc00, v[12:13]
	s_mov_b32 s64, 0x76166929
	s_mov_b32 s65, 0x3fcaef9f
	v_add_f64 v[10:11], v[10:11], -v[36:37]
	v_rndne_f64_e32 v[14:15], v[14:15]
	v_cndmask_b32_e32 v11, 0, v11, vcc_lo
	v_cndmask_b32_e32 v10, 0, v10, vcc_lo
	v_cmp_nlt_f64_e32 vcc_lo, 0x40900000, v[12:13]
	v_fma_f64 v[36:37], v[14:15], s[80:81], v[12:13]
	v_cvt_i32_f64_e32 v2, v[14:15]
	s_and_b32 s31, s1, vcc_lo
	s_and_b32 s31, s31, exec_lo
	v_fma_f64 v[36:37], v[14:15], s[68:69], v[36:37]
	s_mov_b32 s68, 0x65965970
	s_mov_b32 s69, 0x3f719659
	v_fma_f64 v[38:39], v[36:37], s[72:73], s[70:71]
	s_mov_b32 s70, 0x9af15610
	s_mov_b32 s72, 0x8676f310
	;; [unrolled: 1-line block ×4, first 2 shown]
	v_fma_f64 v[38:39], v[36:37], v[38:39], s[74:75]
	s_mov_b32 s75, 0x3f93c924
	v_fma_f64 v[38:39], v[36:37], v[38:39], s[76:77]
	s_mov_b32 s76, 0x92492492
	s_mov_b32 s77, 0xbf93c924
	v_fma_f64 v[38:39], v[36:37], v[38:39], s[78:79]
	s_mov_b32 s78, 0x85dab4b0
	;; [unrolled: 3-line block ×4, first 2 shown]
	s_mov_b32 s85, 0x42d6bcc4
	v_fma_f64 v[38:39], v[36:37], v[38:39], s[86:87]
	v_fma_f64 v[38:39], v[36:37], v[38:39], s[88:89]
	s_mov_b32 s89, 0x3c91a626
	v_fma_f64 v[38:39], v[36:37], v[38:39], s[90:91]
	s_mov_b32 s90, 0x33145c07
	v_fma_f64 v[38:39], v[36:37], v[38:39], 1.0
	v_fma_f64 v[36:37], v[36:37], v[38:39], 1.0
	v_ldexp_f64 v[14:15], v[36:37], v2
	v_readfirstlane_b32 s30, v14
	v_cndmask_b32_e32 v2, 0x7ff00000, v15, vcc_lo
	s_cselect_b32 s30, s30, 0
	v_cndmask_b32_e64 v13, 0, v2, s1
	v_mov_b32_e32 v12, s30
	v_fma_f64 v[10:11], v[12:13], v[10:11], v[12:13]
	v_cmp_class_f64_e64 vcc_lo, v[12:13], 0x204
	v_readfirstlane_b32 s1, v10
	v_cndmask_b32_e32 v2, v11, v13, vcc_lo
	v_trunc_f64_e32 v[10:11], s[2:3]
	s_and_b32 s31, vcc_lo, exec_lo
	s_cselect_b32 s30, s30, s1
	v_cmp_eq_f64_e32 vcc_lo, s[2:3], v[10:11]
	v_mul_f64 v[10:11], s[2:3], 0.5
	v_cmp_gt_f64_e64 s2, 0, v[6:7]
	v_trunc_f64_e32 v[12:13], v[10:11]
	v_cmp_neq_f64_e64 s1, v[12:13], v[10:11]
	s_and_b32 s1, vcc_lo, s1
	s_and_b32 s3, vcc_lo, exec_lo
	v_cndmask_b32_e64 v3, 0x3ff00000, v7, s1
	s_cselect_b32 s3, s30, 0
	s_and_b32 s31, s2, exec_lo
	s_cselect_b32 s3, s3, s30
	v_bfi_b32 v2, 0x7fffffff, v2, v3
	v_cndmask_b32_e32 v3, 0x7ff80000, v2, vcc_lo
	v_cmp_eq_f64_e32 vcc_lo, 0, v[6:7]
	v_cndmask_b32_e64 v2, v2, v3, s2
	v_cmp_class_f64_e64 s2, v[6:7], 0x204
	v_cndmask_b32_e64 v3, 0, v7, s1
	s_or_b32 s2, vcc_lo, s2
	s_and_b32 s30, vcc_lo, exec_lo
	v_cmp_o_f64_e32 vcc_lo, v[6:7], v[6:7]
	s_cselect_b32 s30, 0, 0x7ff00000
	s_and_b32 s1, s2, exec_lo
	v_bfi_b32 v3, 0x7fffffff, s30, v3
	s_cselect_b32 s1, 0, s3
	s_mov_b32 s3, 0x3ff921fb
                                        ; implicit-def: $sgpr30
	v_cndmask_b32_e64 v2, v2, v3, s2
	s_and_b32 s2, vcc_lo, exec_lo
	s_cselect_b32 s1, s1, 0
	v_cndmask_b32_e32 v7, 0x7ff80000, v2, vcc_lo
	v_mov_b32_e32 v6, s1
	v_and_b32_e32 v2, 1, v72
	v_add_f64 v[0:1], v[6:7], v[0:1]
	v_mul_f64 v[6:7], 0x40080000, s[8:9]
	v_mul_f64 v[10:11], v[0:1], v[0:1]
	v_fma_f64 v[6:7], s[8:9], v[6:7], v[10:11]
	v_cmp_gt_f64_e32 vcc_lo, 0x10000000, v[6:7]
	s_and_b32 s1, vcc_lo, exec_lo
	s_cselect_b32 s1, 0x100, 0
	v_ldexp_f64 v[6:7], v[6:7], s1
	s_cselect_b32 s1, 0xffffff80, 0
	v_rsq_f64_e32 v[10:11], v[6:7]
	v_cmp_class_f64_e64 vcc_lo, v[6:7], 0x260
	v_mul_f64 v[12:13], v[6:7], v[10:11]
	v_mul_f64 v[10:11], v[10:11], 0.5
	v_fma_f64 v[14:15], -v[10:11], v[12:13], 0.5
	v_fma_f64 v[12:13], v[12:13], v[14:15], v[12:13]
	v_fma_f64 v[10:11], v[10:11], v[14:15], v[10:11]
	v_fma_f64 v[36:37], -v[12:13], v[12:13], v[6:7]
	v_fma_f64 v[12:13], v[36:37], v[10:11], v[12:13]
	v_fma_f64 v[14:15], -v[12:13], v[12:13], v[6:7]
	v_fma_f64 v[10:11], v[14:15], v[10:11], v[12:13]
	v_add_f64 v[12:13], 0x40080000, -v[0:1]
	v_add_f64 v[0:1], 0x40080000, v[0:1]
	v_ldexp_f64 v[10:11], v[10:11], s1
	v_cndmask_b32_e32 v7, v11, v7, vcc_lo
	v_cndmask_b32_e32 v6, v10, v6, vcc_lo
	v_fma_f64 v[0:1], v[6:7], 2.0, v[0:1]
	v_add_f64 v[10:11], 0x40080000, v[6:7]
	v_mul_f64 v[0:1], v[12:13], v[0:1]
	v_cmp_gt_f64_e32 vcc_lo, 0x10000000, v[0:1]
	s_and_b32 s1, vcc_lo, exec_lo
	s_cselect_b32 s1, 0x100, 0
	v_ldexp_f64 v[0:1], v[0:1], s1
	s_cselect_b32 s1, 0xffffff80, 0
	v_rsq_f64_e32 v[6:7], v[0:1]
	v_cmp_class_f64_e64 vcc_lo, v[0:1], 0x260
	v_mul_f64 v[12:13], v[0:1], v[6:7]
	v_mul_f64 v[6:7], v[6:7], 0.5
	v_fma_f64 v[14:15], -v[6:7], v[12:13], 0.5
	v_fma_f64 v[12:13], v[12:13], v[14:15], v[12:13]
	v_fma_f64 v[6:7], v[6:7], v[14:15], v[6:7]
	v_fma_f64 v[36:37], -v[12:13], v[12:13], v[0:1]
	v_fma_f64 v[12:13], v[36:37], v[6:7], v[12:13]
	v_fma_f64 v[14:15], -v[12:13], v[12:13], v[0:1]
	v_fma_f64 v[6:7], v[14:15], v[6:7], v[12:13]
	v_ldexp_f64 v[6:7], v[6:7], s1
	v_cndmask_b32_e32 v1, v7, v1, vcc_lo
	v_cndmask_b32_e32 v0, v6, v0, vcc_lo
	v_cmp_eq_u32_e32 vcc_lo, 0, v2
	v_lshlrev_b32_e32 v2, 30, v72
	v_add_f64 v[0:1], v[10:11], -v[0:1]
	v_xor_b32_e32 v2, v2, v79
	v_and_b32_e32 v2, 0x80000000, v2
	v_cvt_f32_f64_e32 v0, v[0:1]
	v_cvt_f64_f32_e32 v[0:1], v0
	buffer_store_dword v0, off, s[100:103], 0 offset:160 ; 4-byte Folded Spill
	buffer_store_dword v1, off, s[100:103], 0 offset:164 ; 4-byte Folded Spill
	v_mul_f64 v[0:1], v[16:17], v[16:17]
	v_mul_f64 v[6:7], v[0:1], 0.5
	v_fma_f64 v[14:15], v[0:1], s[6:7], s[4:5]
	v_add_f64 v[10:11], -v[6:7], 1.0
	v_fma_f64 v[14:15], v[0:1], v[14:15], s[10:11]
	v_add_f64 v[12:13], -v[10:11], 1.0
	v_fma_f64 v[14:15], v[0:1], v[14:15], s[12:13]
	v_add_f64 v[6:7], v[12:13], -v[6:7]
	v_fma_f64 v[14:15], v[0:1], v[14:15], s[14:15]
	v_mul_f64 v[12:13], v[0:1], v[0:1]
	v_fma_f64 v[6:7], v[16:17], -v[18:19], v[6:7]
	v_fma_f64 v[14:15], v[0:1], v[14:15], s[16:17]
	v_fma_f64 v[6:7], v[12:13], v[14:15], v[6:7]
	v_mul_f64 v[12:13], v[16:17], -v[0:1]
	v_mul_f64 v[14:15], v[18:19], 0.5
	v_add_f64 v[6:7], v[10:11], v[6:7]
	v_fma_f64 v[10:11], v[0:1], s[20:21], s[18:19]
	v_fma_f64 v[10:11], v[0:1], v[10:11], s[22:23]
	;; [unrolled: 1-line block ×5, first 2 shown]
	v_fma_f64 v[0:1], v[0:1], v[10:11], -v[18:19]
	v_fma_f64 v[10:11], v[54:55], -2.0, v[24:25]
	v_fma_f64 v[0:1], v[12:13], s[28:29], v[0:1]
	v_mul_f64 v[12:13], v[24:25], v[34:35]
	v_add_f64 v[0:1], v[16:17], -v[0:1]
	v_cndmask_b32_e32 v0, v6, v0, vcc_lo
	v_cndmask_b32_e32 v1, v7, v1, vcc_lo
	v_fma_f64 v[6:7], v[54:55], -2.0, v[20:21]
	v_cndmask_b32_e64 v0, 0, v0, s0
	v_xor_b32_e32 v1, v1, v2
	v_cndmask_b32_e64 v1, 0x7ff80000, v1, s0
	s_mov_b32 s0, 0x53c8d4f1
	v_writelane_b32 v127, s0, 10
	v_mul_f64 v[0:1], v[0:1], v[0:1]
	v_writelane_b32 v127, s1, 11
	v_add_f64 v[6:7], v[8:9], v[6:7]
	v_div_scale_f64 v[14:15], null, v[6:7], v[6:7], v[12:13]
	v_rcp_f64_e32 v[16:17], v[14:15]
	v_fma_f64 v[18:19], -v[14:15], v[16:17], 1.0
	v_fma_f64 v[16:17], v[16:17], v[18:19], v[16:17]
	v_fma_f64 v[18:19], -v[14:15], v[16:17], 1.0
	v_fma_f64 v[16:17], v[16:17], v[18:19], v[16:17]
	v_div_scale_f64 v[18:19], vcc_lo, v[12:13], v[6:7], v[12:13]
	v_mul_f64 v[20:21], v[18:19], v[16:17]
	v_fma_f64 v[14:15], -v[14:15], v[20:21], v[18:19]
	v_div_fmas_f64 v[14:15], v[14:15], v[16:17], v[20:21]
	v_mul_f64 v[16:17], v[34:35], v[34:35]
	v_div_fixup_f64 v[12:13], v[14:15], v[6:7], v[12:13]
	v_div_scale_f64 v[18:19], null, v[6:7], v[6:7], v[16:17]
	v_mul_f64 v[14:15], v[24:25], v[32:33]
	v_rcp_f64_e32 v[20:21], v[18:19]
	v_fma_f64 v[34:35], -v[18:19], v[20:21], 1.0
	v_fma_f64 v[20:21], v[20:21], v[34:35], v[20:21]
	v_fma_f64 v[34:35], -v[18:19], v[20:21], 1.0
	v_fma_f64 v[20:21], v[20:21], v[34:35], v[20:21]
	v_div_scale_f64 v[34:35], vcc_lo, v[16:17], v[6:7], v[16:17]
	v_mul_f64 v[36:37], v[34:35], v[20:21]
	v_fma_f64 v[18:19], -v[18:19], v[36:37], v[34:35]
	v_div_fmas_f64 v[18:19], v[18:19], v[20:21], v[36:37]
	v_div_fixup_f64 v[16:17], v[18:19], v[6:7], v[16:17]
	v_mul_f64 v[18:19], v[6:7], v[0:1]
	v_mul_f64 v[6:7], v[6:7], v[24:25]
	v_fma_f64 v[16:17], v[32:33], v[32:33], v[16:17]
	v_mul_f64 v[18:19], v[22:23], v[18:19]
	v_mul_f64 v[18:19], v[22:23], v[18:19]
	v_fma_f64 v[16:17], v[10:11], v[16:17], v[18:19]
	v_cmp_gt_f64_e32 vcc_lo, 0x10000000, v[16:17]
	v_cndmask_b32_e64 v2, 0, 0x100, vcc_lo
	v_ldexp_f64 v[16:17], v[16:17], v2
	v_cndmask_b32_e64 v2, 0, 0xffffff80, vcc_lo
	v_rsq_f64_e32 v[18:19], v[16:17]
	v_cmp_class_f64_e64 vcc_lo, v[16:17], 0x260
	v_mul_f64 v[20:21], v[16:17], v[18:19]
	v_mul_f64 v[18:19], v[18:19], 0.5
	v_fma_f64 v[32:33], -v[18:19], v[20:21], 0.5
	v_fma_f64 v[20:21], v[20:21], v[32:33], v[20:21]
	v_fma_f64 v[18:19], v[18:19], v[32:33], v[18:19]
	v_fma_f64 v[34:35], -v[20:21], v[20:21], v[16:17]
	v_fma_f64 v[20:21], v[34:35], v[18:19], v[20:21]
	v_fma_f64 v[32:33], -v[20:21], v[20:21], v[16:17]
	v_fma_f64 v[18:19], v[32:33], v[18:19], v[20:21]
	v_ldexp_f64 v[18:19], v[18:19], v2
	s_clause 0x1
	buffer_load_dword v2, off, s[100:103], 0 offset:176
	buffer_load_dword v3, off, s[100:103], 0 offset:180
	v_cndmask_b32_e32 v17, v19, v17, vcc_lo
	v_cndmask_b32_e32 v16, v18, v16, vcc_lo
	v_div_scale_f64 v[18:19], null, v[16:17], v[16:17], v[12:13]
	v_rcp_f64_e32 v[20:21], v[18:19]
	v_fma_f64 v[32:33], -v[18:19], v[20:21], 1.0
	v_fma_f64 v[20:21], v[20:21], v[32:33], v[20:21]
	v_fma_f64 v[32:33], -v[18:19], v[20:21], 1.0
	v_fma_f64 v[20:21], v[20:21], v[32:33], v[20:21]
	v_div_scale_f64 v[32:33], vcc_lo, v[12:13], v[16:17], v[12:13]
	v_mul_f64 v[34:35], v[32:33], v[20:21]
	v_fma_f64 v[18:19], -v[18:19], v[34:35], v[32:33]
	v_div_fmas_f64 v[18:19], v[18:19], v[20:21], v[34:35]
	v_div_fixup_f64 v[52:53], v[18:19], v[16:17], v[12:13]
	v_div_scale_f64 v[12:13], null, v[16:17], v[16:17], v[14:15]
	v_rcp_f64_e32 v[20:21], v[12:13]
	v_fma_f64 v[32:33], -v[12:13], v[20:21], 1.0
	v_fma_f64 v[20:21], v[20:21], v[32:33], v[20:21]
	v_fma_f64 v[32:33], -v[12:13], v[20:21], 1.0
	v_fma_f64 v[20:21], v[20:21], v[32:33], v[20:21]
	v_div_scale_f64 v[32:33], vcc_lo, v[14:15], v[16:17], v[14:15]
	v_mul_f64 v[34:35], v[32:33], v[20:21]
	v_fma_f64 v[12:13], -v[12:13], v[34:35], v[32:33]
	v_div_fmas_f64 v[12:13], v[12:13], v[20:21], v[34:35]
	v_div_fixup_f64 v[56:57], v[12:13], v[16:17], v[14:15]
	s_waitcnt vmcnt(0)
	v_mul_f64 v[12:13], v[2:3], v[54:55]
	v_mul_f64 v[12:13], v[12:13], v[16:17]
	v_fma_f64 v[6:7], v[6:7], v[22:23], -v[12:13]
	v_mul_f64 v[6:7], v[0:1], v[6:7]
	v_div_scale_f64 v[12:13], null, v[10:11], v[10:11], v[6:7]
	v_rcp_f64_e32 v[14:15], v[12:13]
	v_fma_f64 v[22:23], -v[12:13], v[14:15], 1.0
	v_fma_f64 v[14:15], v[14:15], v[22:23], v[14:15]
	v_fma_f64 v[22:23], -v[12:13], v[14:15], 1.0
	v_fma_f64 v[14:15], v[14:15], v[22:23], v[14:15]
	v_div_scale_f64 v[22:23], vcc_lo, v[6:7], v[10:11], v[6:7]
	v_mul_f64 v[24:25], v[22:23], v[14:15]
	v_fma_f64 v[12:13], -v[12:13], v[24:25], v[22:23]
	v_div_fmas_f64 v[12:13], v[12:13], v[14:15], v[24:25]
	v_div_fixup_f64 v[6:7], v[12:13], v[10:11], v[6:7]
	v_div_scale_f64 v[10:11], null, v[16:17], v[16:17], v[6:7]
	v_rcp_f64_e32 v[12:13], v[10:11]
	v_fma_f64 v[14:15], -v[10:11], v[12:13], 1.0
	v_fma_f64 v[12:13], v[12:13], v[14:15], v[12:13]
	v_fma_f64 v[14:15], -v[10:11], v[12:13], 1.0
	v_fma_f64 v[12:13], v[12:13], v[14:15], v[12:13]
	v_div_scale_f64 v[14:15], vcc_lo, v[6:7], v[16:17], v[6:7]
	v_mul_f64 v[22:23], v[14:15], v[12:13]
	v_fma_f64 v[10:11], -v[10:11], v[22:23], v[14:15]
	v_div_fmas_f64 v[10:11], v[10:11], v[12:13], v[22:23]
	v_div_fixup_f64 v[16:17], v[10:11], v[16:17], v[6:7]
	v_mul_f64 v[6:7], v[56:57], v[56:57]
	v_mul_f64 v[58:59], v[16:17], v[16:17]
	v_fma_f64 v[6:7], v[8:9], v[0:1], v[6:7]
	v_div_scale_f64 v[10:11], null, v[0:1], v[0:1], v[58:59]
	v_rcp_f64_e32 v[12:13], v[10:11]
	v_fma_f64 v[14:15], -v[10:11], v[12:13], 1.0
	v_fma_f64 v[12:13], v[12:13], v[14:15], v[12:13]
	v_fma_f64 v[14:15], -v[10:11], v[12:13], 1.0
	v_fma_f64 v[12:13], v[12:13], v[14:15], v[12:13]
	v_div_scale_f64 v[14:15], vcc_lo, v[58:59], v[0:1], v[58:59]
	v_mul_f64 v[24:25], v[14:15], v[12:13]
	v_fma_f64 v[10:11], -v[10:11], v[24:25], v[14:15]
	v_div_fmas_f64 v[10:11], v[10:11], v[12:13], v[24:25]
	v_div_fixup_f64 v[0:1], v[10:11], v[0:1], v[58:59]
	v_add_f64 v[0:1], v[6:7], v[0:1]
	buffer_store_dword v0, off, s[100:103], 0 offset:8 ; 4-byte Folded Spill
	buffer_store_dword v1, off, s[100:103], 0 offset:12 ; 4-byte Folded Spill
	v_lshl_add_u32 v0, v27, 10, v26
	v_mov_b32_e32 v26, 0
	v_lshl_add_u32 v0, v0, 1, v0
	v_mov_b32_e32 v1, v26
	v_mov_b32_e32 v27, v26
	v_lshlrev_b64 v[6:7], 3, v[0:1]
	s_waitcnt lgkmcnt(0)
	v_add_co_u32 v6, vcc_lo, s34, v6
	v_add_co_ci_u32_e64 v7, null, s35, v7, vcc_lo
	global_store_dwordx2 v[6:7], v[30:31], off
	v_add_nc_u32_e32 v6, 1, v0
	v_mov_b32_e32 v7, v26
	v_add_nc_u32_e32 v0, 2, v0
	v_lshlrev_b64 v[6:7], 3, v[6:7]
	v_lshlrev_b64 v[0:1], 3, v[0:1]
	v_add_co_u32 v6, vcc_lo, s34, v6
	v_add_co_ci_u32_e64 v7, null, s35, v7, vcc_lo
	v_add_co_u32 v0, vcc_lo, s34, v0
	v_add_co_ci_u32_e64 v1, null, s35, v1, vcc_lo
	global_store_dwordx2 v[6:7], v[28:29], off
	buffer_store_dword v0, off, s[100:103], 0 offset:184 ; 4-byte Folded Spill
	buffer_store_dword v1, off, s[100:103], 0 offset:188 ; 4-byte Folded Spill
	s_mov_b32 s34, 0xd2f1a9fc
	s_mov_b32 s35, 0x3f50624d
	global_store_dwordx2 v[0:1], v[26:27], off
	buffer_store_dword v16, off, s[100:103], 0 offset:32 ; 4-byte Folded Spill
	buffer_store_dword v17, off, s[100:103], 0 offset:36 ; 4-byte Folded Spill
	v_mul_f64 v[0:1], v[2:3], v[16:17]
	buffer_store_dword v0, off, s[100:103], 0 offset:16 ; 4-byte Folded Spill
	buffer_store_dword v1, off, s[100:103], 0 offset:20 ; 4-byte Folded Spill
	s_branch .LBB0_78
.LBB0_77:                               ;   in Loop: Header=BB0_78 Depth=1
	s_or_b32 exec_lo, exec_lo, s1
	s_clause 0x3
	buffer_load_dword v18, off, s[100:103], 0 offset:152
	buffer_load_dword v19, off, s[100:103], 0 offset:156
	;; [unrolled: 1-line block ×4, first 2 shown]
	s_mov_b32 s86, 0x43b990ee
	s_mov_b32 s87, 0x3fb90ee6
	s_and_b32 s0, exec_lo, s0
	v_fma_f64 v[2:3], v[60:61], s[86:87], v[56:57]
	v_fma_f64 v[4:5], v[64:65], s[86:87], v[52:53]
	s_or_b32 s33, s0, s33
	s_andn2_b32 s0, s30, exec_lo
	s_and_b32 s1, s104, exec_lo
	s_or_b32 s30, s0, s1
	v_fma_f64 v[2:3], v[68:69], s[62:63], v[2:3]
	v_fma_f64 v[4:5], v[74:75], s[62:63], v[4:5]
	;; [unrolled: 1-line block ×6, first 2 shown]
	v_mov_b32_e32 v4, v14
	v_mov_b32_e32 v5, v15
	s_waitcnt vmcnt(0)
	v_fma_f64 v[18:19], v[16:17], s[86:87], v[18:19]
	s_clause 0x3
	buffer_load_dword v20, off, s[100:103], 0 offset:144
	buffer_load_dword v21, off, s[100:103], 0 offset:148
	;; [unrolled: 1-line block ×4, first 2 shown]
	v_fma_f64 v[18:19], v[92:93], s[62:63], v[18:19]
	v_fma_f64 v[24:25], v[96:97], s[64:65], v[18:19]
	;; [unrolled: 1-line block ×3, first 2 shown]
	buffer_store_dword v2, off, s[100:103], 0 offset:152 ; 4-byte Folded Spill
	buffer_store_dword v3, off, s[100:103], 0 offset:156 ; 4-byte Folded Spill
	s_waitcnt vmcnt(0)
	v_fma_f64 v[20:21], v[16:17], s[86:87], v[20:21]
	v_fma_f64 v[20:21], v[84:85], s[62:63], v[20:21]
	;; [unrolled: 1-line block ×4, first 2 shown]
	buffer_store_dword v0, off, s[100:103], 0 offset:144 ; 4-byte Folded Spill
	buffer_store_dword v1, off, s[100:103], 0 offset:148 ; 4-byte Folded Spill
	s_andn2_b32 exec_lo, exec_lo, s33
	s_cbranch_execz .LBB0_146
.LBB0_78:                               ; =>This Loop Header: Depth=1
                                        ;     Child Loop BB0_90 Depth 2
	v_cmp_ngt_f64_e64 s0, 0x41d00000, |v[4:5]|
	v_trig_preop_f64 v[14:15], |v[4:5]|, 0
	v_trig_preop_f64 v[12:13], |v[4:5]|, 1
	v_ldexp_f64 v[32:33], |v[4:5]|, 0xffffff80
	v_trig_preop_f64 v[10:11], |v[4:5]|, 2
	buffer_store_dword v4, off, s[100:103], 0 ; 4-byte Folded Spill
	buffer_store_dword v5, off, s[100:103], 0 offset:4 ; 4-byte Folded Spill
                                        ; implicit-def: $vgpr29
                                        ; implicit-def: $vgpr0_vgpr1
                                        ; implicit-def: $vgpr6_vgpr7
	v_and_b32_e32 v37, 0x7fffffff, v5
	s_and_saveexec_b32 s1, s0
	s_xor_b32 s1, exec_lo, s1
	s_cbranch_execz .LBB0_80
; %bb.79:                               ;   in Loop: Header=BB0_78 Depth=1
	s_clause 0x1
	buffer_load_dword v0, off, s[100:103], 0
	buffer_load_dword v1, off, s[100:103], 0 offset:4
	s_mov_b32 s2, s56
	s_mov_b32 s91, s89
	s_waitcnt vmcnt(0)
	v_cmp_le_f64_e64 vcc_lo, 0x7b000000, |v[0:1]|
	v_cndmask_b32_e32 v1, v37, v33, vcc_lo
	v_cndmask_b32_e32 v0, v0, v32, vcc_lo
	v_mul_f64 v[27:28], v[14:15], v[0:1]
	v_mul_f64 v[6:7], v[12:13], v[0:1]
	v_fma_f64 v[34:35], v[14:15], v[0:1], -v[27:28]
	v_add_f64 v[38:39], v[6:7], v[34:35]
	v_add_f64 v[46:47], v[38:39], -v[6:7]
	v_add_f64 v[40:41], v[27:28], v[38:39]
	v_add_f64 v[34:35], v[34:35], -v[46:47]
	v_add_f64 v[46:47], v[38:39], -v[46:47]
	v_ldexp_f64 v[42:43], v[40:41], -2
	v_add_f64 v[27:28], v[40:41], -v[27:28]
	v_add_f64 v[46:47], v[6:7], -v[46:47]
	v_fma_f64 v[6:7], v[12:13], v[0:1], -v[6:7]
	v_add_f64 v[27:28], v[38:39], -v[27:28]
	v_fract_f64_e32 v[44:45], v[42:43]
	v_cmp_neq_f64_e64 vcc_lo, 0x7ff00000, |v[42:43]|
	v_add_f64 v[34:35], v[34:35], v[46:47]
	v_mul_f64 v[46:47], v[10:11], v[0:1]
	v_add_f64 v[48:49], v[46:47], v[6:7]
	v_fma_f64 v[0:1], v[10:11], v[0:1], -v[46:47]
	v_add_f64 v[50:51], v[48:49], v[34:35]
	v_add_f64 v[40:41], v[50:51], -v[48:49]
	v_add_f64 v[38:39], v[27:28], v[50:51]
	v_add_f64 v[34:35], v[34:35], -v[40:41]
	v_add_f64 v[40:41], v[50:51], -v[40:41]
	;; [unrolled: 1-line block ×5, first 2 shown]
	v_add_f64 v[34:35], v[34:35], v[40:41]
	v_add_f64 v[40:41], v[48:49], -v[46:47]
	v_add_f64 v[6:7], v[6:7], -v[40:41]
	v_add_f64 v[40:41], v[48:49], -v[40:41]
	v_add_f64 v[40:41], v[46:47], -v[40:41]
	v_add_f64 v[6:7], v[6:7], v[40:41]
	v_add_f64 v[6:7], v[6:7], v[34:35]
	;; [unrolled: 1-line block ×3, first 2 shown]
	v_ldexp_f64 v[6:7], v[44:45], 2
	v_add_f64 v[0:1], v[27:28], v[0:1]
	v_cndmask_b32_e32 v7, 0, v7, vcc_lo
	v_cndmask_b32_e32 v6, 0, v6, vcc_lo
	v_add_f64 v[27:28], v[38:39], v[6:7]
	v_cmp_gt_f64_e32 vcc_lo, 0, v[27:28]
	v_cndmask_b32_e64 v27, 0, 0x40100000, vcc_lo
	v_add_f64 v[6:7], v[6:7], v[26:27]
	v_add_f64 v[27:28], v[38:39], v[6:7]
	v_cvt_i32_f64_e32 v2, v[27:28]
	v_cvt_f64_i32_e32 v[27:28], v2
	v_add_f64 v[6:7], v[6:7], -v[27:28]
	v_add_f64 v[34:35], v[38:39], v[6:7]
	v_add_f64 v[6:7], v[34:35], -v[6:7]
	v_cmp_le_f64_e32 vcc_lo, 0.5, v[34:35]
	v_add_f64 v[6:7], v[38:39], -v[6:7]
	v_cndmask_b32_e64 v27, 0, 0x3ff00000, vcc_lo
	v_add_co_ci_u32_e64 v29, null, 0, v2, vcc_lo
	v_add_f64 v[0:1], v[0:1], v[6:7]
	v_add_f64 v[6:7], v[34:35], -v[26:27]
	v_add_f64 v[27:28], v[6:7], v[0:1]
	v_add_f64 v[6:7], v[27:28], -v[6:7]
	v_add_f64 v[0:1], v[0:1], -v[6:7]
	v_mul_f64 v[6:7], v[27:28], s[2:3]
	v_fma_f64 v[34:35], v[27:28], s[2:3], -v[6:7]
	v_fma_f64 v[27:28], v[27:28], s[90:91], v[34:35]
	v_fma_f64 v[27:28], v[0:1], s[2:3], v[27:28]
	v_add_f64 v[0:1], v[6:7], v[27:28]
	v_add_f64 v[6:7], v[0:1], -v[6:7]
	v_add_f64 v[6:7], v[27:28], -v[6:7]
	s_andn2_saveexec_b32 s1, s1
	s_cbranch_execz .LBB0_82
	s_branch .LBB0_81
.LBB0_80:                               ;   in Loop: Header=BB0_78 Depth=1
	s_andn2_saveexec_b32 s1, s1
	s_cbranch_execz .LBB0_82
.LBB0_81:                               ;   in Loop: Header=BB0_78 Depth=1
	s_clause 0x1
	buffer_load_dword v2, off, s[100:103], 0
	buffer_load_dword v3, off, s[100:103], 0 offset:4
	s_mov_b32 s88, s94
	s_waitcnt vmcnt(0)
	v_mul_f64 v[0:1], |v[2:3]|, s[92:93]
	v_rndne_f64_e32 v[27:28], v[0:1]
	v_fma_f64 v[0:1], v[27:28], s[56:57], |v[2:3]|
	v_mul_f64 v[6:7], v[27:28], s[94:95]
	v_cvt_i32_f64_e32 v29, v[27:28]
	v_fma_f64 v[38:39], v[27:28], s[94:95], v[0:1]
	v_add_f64 v[34:35], v[0:1], v[6:7]
	v_add_f64 v[0:1], v[0:1], -v[34:35]
	v_add_f64 v[34:35], v[34:35], -v[38:39]
	v_add_f64 v[0:1], v[0:1], v[6:7]
	v_fma_f64 v[6:7], v[27:28], s[88:89], v[6:7]
	v_add_f64 v[0:1], v[34:35], v[0:1]
	v_add_f64 v[0:1], v[0:1], -v[6:7]
	v_fma_f64 v[6:7], v[27:28], s[96:97], v[0:1]
	v_add_f64 v[0:1], v[38:39], v[6:7]
	v_add_f64 v[34:35], v[0:1], -v[38:39]
	v_add_f64 v[6:7], v[6:7], -v[34:35]
.LBB0_82:                               ;   in Loop: Header=BB0_78 Depth=1
	s_or_b32 exec_lo, exec_lo, s1
                                        ; implicit-def: $vgpr36
                                        ; implicit-def: $vgpr27_vgpr28
                                        ; implicit-def: $vgpr34_vgpr35
	s_and_saveexec_b32 s1, s0
	s_xor_b32 s0, exec_lo, s1
	s_cbranch_execz .LBB0_84
; %bb.83:                               ;   in Loop: Header=BB0_78 Depth=1
	s_clause 0x1
	buffer_load_dword v2, off, s[100:103], 0
	buffer_load_dword v3, off, s[100:103], 0 offset:4
	s_mov_b32 s2, s56
	s_mov_b32 s91, s89
	s_waitcnt vmcnt(0)
	v_cmp_le_f64_e64 vcc_lo, 0x7b000000, |v[2:3]|
	v_cndmask_b32_e32 v28, v37, v33, vcc_lo
	v_cndmask_b32_e32 v27, v2, v32, vcc_lo
	v_mul_f64 v[34:35], v[14:15], v[27:28]
	v_mul_f64 v[32:33], v[12:13], v[27:28]
	v_fma_f64 v[14:15], v[14:15], v[27:28], -v[34:35]
	v_fma_f64 v[12:13], v[12:13], v[27:28], -v[32:33]
	v_add_f64 v[36:37], v[32:33], v[14:15]
	v_add_f64 v[44:45], v[36:37], -v[32:33]
	v_add_f64 v[38:39], v[34:35], v[36:37]
	v_add_f64 v[14:15], v[14:15], -v[44:45]
	v_add_f64 v[44:45], v[36:37], -v[44:45]
	v_ldexp_f64 v[40:41], v[38:39], -2
	v_add_f64 v[34:35], v[38:39], -v[34:35]
	v_add_f64 v[44:45], v[32:33], -v[44:45]
	v_mul_f64 v[32:33], v[10:11], v[27:28]
	v_fract_f64_e32 v[42:43], v[40:41]
	v_add_f64 v[34:35], v[36:37], -v[34:35]
	v_cmp_neq_f64_e64 vcc_lo, 0x7ff00000, |v[40:41]|
	v_add_f64 v[14:15], v[14:15], v[44:45]
	v_add_f64 v[44:45], v[32:33], v[12:13]
	v_fma_f64 v[10:11], v[10:11], v[27:28], -v[32:33]
	v_add_f64 v[46:47], v[44:45], v[14:15]
	v_add_f64 v[38:39], v[46:47], -v[44:45]
	v_add_f64 v[36:37], v[34:35], v[46:47]
	v_add_f64 v[14:15], v[14:15], -v[38:39]
	v_add_f64 v[38:39], v[46:47], -v[38:39]
	;; [unrolled: 1-line block ×5, first 2 shown]
	v_add_f64 v[14:15], v[14:15], v[38:39]
	v_add_f64 v[38:39], v[44:45], -v[32:33]
	v_add_f64 v[12:13], v[12:13], -v[38:39]
	;; [unrolled: 1-line block ×4, first 2 shown]
	v_add_f64 v[12:13], v[12:13], v[38:39]
	v_add_f64 v[12:13], v[12:13], v[14:15]
	;; [unrolled: 1-line block ×3, first 2 shown]
	v_ldexp_f64 v[12:13], v[42:43], 2
	v_add_f64 v[10:11], v[34:35], v[10:11]
	v_cndmask_b32_e32 v13, 0, v13, vcc_lo
	v_cndmask_b32_e32 v12, 0, v12, vcc_lo
	v_add_f64 v[14:15], v[36:37], v[12:13]
	v_cmp_gt_f64_e32 vcc_lo, 0, v[14:15]
	v_cndmask_b32_e64 v27, 0, 0x40100000, vcc_lo
	v_add_f64 v[12:13], v[12:13], v[26:27]
	v_add_f64 v[14:15], v[36:37], v[12:13]
	v_cvt_i32_f64_e32 v2, v[14:15]
	v_cvt_f64_i32_e32 v[14:15], v2
	v_add_f64 v[12:13], v[12:13], -v[14:15]
	v_add_f64 v[14:15], v[36:37], v[12:13]
	v_add_f64 v[12:13], v[14:15], -v[12:13]
	v_cmp_le_f64_e32 vcc_lo, 0.5, v[14:15]
	v_add_f64 v[12:13], v[36:37], -v[12:13]
	v_cndmask_b32_e64 v27, 0, 0x3ff00000, vcc_lo
	v_add_co_ci_u32_e64 v36, null, 0, v2, vcc_lo
	v_add_f64 v[10:11], v[10:11], v[12:13]
	v_add_f64 v[12:13], v[14:15], -v[26:27]
	v_add_f64 v[14:15], v[12:13], v[10:11]
	v_add_f64 v[12:13], v[14:15], -v[12:13]
	v_add_f64 v[10:11], v[10:11], -v[12:13]
	v_mul_f64 v[12:13], v[14:15], s[2:3]
	v_fma_f64 v[27:28], v[14:15], s[2:3], -v[12:13]
	v_fma_f64 v[14:15], v[14:15], s[90:91], v[27:28]
	v_fma_f64 v[10:11], v[10:11], s[2:3], v[14:15]
	v_add_f64 v[27:28], v[12:13], v[10:11]
	v_add_f64 v[12:13], v[27:28], -v[12:13]
	v_add_f64 v[34:35], v[10:11], -v[12:13]
	s_andn2_saveexec_b32 s0, s0
	s_cbranch_execnz .LBB0_85
	s_branch .LBB0_86
.LBB0_84:                               ;   in Loop: Header=BB0_78 Depth=1
	s_andn2_saveexec_b32 s0, s0
	s_cbranch_execz .LBB0_86
.LBB0_85:                               ;   in Loop: Header=BB0_78 Depth=1
	s_clause 0x1
	buffer_load_dword v2, off, s[100:103], 0
	buffer_load_dword v3, off, s[100:103], 0 offset:4
	s_mov_b32 s88, s94
	s_waitcnt vmcnt(0)
	v_mul_f64 v[10:11], |v[2:3]|, s[92:93]
	v_rndne_f64_e32 v[10:11], v[10:11]
	v_fma_f64 v[12:13], v[10:11], s[56:57], |v[2:3]|
	v_mul_f64 v[14:15], v[10:11], s[94:95]
	v_cvt_i32_f64_e32 v36, v[10:11]
	v_fma_f64 v[32:33], v[10:11], s[94:95], v[12:13]
	v_add_f64 v[27:28], v[12:13], v[14:15]
	v_add_f64 v[12:13], v[12:13], -v[27:28]
	v_add_f64 v[27:28], v[27:28], -v[32:33]
	v_add_f64 v[12:13], v[12:13], v[14:15]
	v_fma_f64 v[14:15], v[10:11], s[88:89], v[14:15]
	v_add_f64 v[12:13], v[27:28], v[12:13]
	v_add_f64 v[12:13], v[12:13], -v[14:15]
	v_fma_f64 v[12:13], v[10:11], s[96:97], v[12:13]
	v_add_f64 v[27:28], v[32:33], v[12:13]
	v_add_f64 v[14:15], v[27:28], -v[32:33]
	v_add_f64 v[34:35], v[12:13], -v[14:15]
.LBB0_86:                               ;   in Loop: Header=BB0_78 Depth=1
	s_or_b32 exec_lo, exec_lo, s0
	v_mul_f64 v[10:11], v[0:1], v[0:1]
	v_mul_f64 v[32:33], v[6:7], 0.5
	s_mov_b32 s28, s16
	s_clause 0x1
	buffer_load_dword v20, off, s[100:103], 0
	buffer_load_dword v21, off, s[100:103], 0 offset:4
	v_and_b32_e32 v2, 1, v29
	v_and_b32_e32 v3, 1, v36
	v_lshlrev_b32_e32 v4, 30, v36
	s_mov_b32 s31, 0
	v_cmp_eq_u32_e64 s0, 0, v2
	v_lshlrev_b32_e32 v2, 30, v29
	v_and_b32_e32 v4, 0x80000000, v4
	v_fma_f64 v[14:15], v[10:11], s[20:21], s[18:19]
	v_mul_f64 v[12:13], v[0:1], -v[10:11]
	v_fma_f64 v[39:40], v[10:11], s[6:7], s[4:5]
	v_mul_f64 v[37:38], v[10:11], v[10:11]
	v_fma_f64 v[14:15], v[10:11], v[14:15], s[22:23]
	v_fma_f64 v[39:40], v[10:11], v[39:40], s[10:11]
	v_fma_f64 v[14:15], v[10:11], v[14:15], s[24:25]
	v_fma_f64 v[39:40], v[10:11], v[39:40], s[12:13]
	v_fma_f64 v[14:15], v[10:11], v[14:15], s[26:27]
	v_fma_f64 v[39:40], v[10:11], v[39:40], s[14:15]
	v_fma_f64 v[14:15], v[12:13], v[14:15], v[32:33]
	v_fma_f64 v[14:15], v[10:11], v[14:15], -v[6:7]
	v_fma_f64 v[12:13], v[12:13], s[28:29], v[14:15]
	v_mul_f64 v[14:15], v[10:11], 0.5
	v_fma_f64 v[10:11], v[10:11], v[39:40], s[16:17]
	v_add_f64 v[12:13], v[0:1], -v[12:13]
	v_add_f64 v[32:33], -v[14:15], 1.0
	v_add_f64 v[39:40], -v[32:33], 1.0
	v_add_f64 v[14:15], v[39:40], -v[14:15]
	v_fma_f64 v[0:1], v[0:1], -v[6:7], v[14:15]
	v_mul_f64 v[6:7], v[27:28], v[27:28]
	v_fma_f64 v[0:1], v[37:38], v[10:11], v[0:1]
	v_mul_f64 v[10:11], v[6:7], 0.5
	v_add_f64 v[0:1], v[32:33], v[0:1]
	v_fma_f64 v[32:33], v[6:7], s[6:7], s[4:5]
	v_cndmask_b32_e64 v0, v0, v12, s0
	v_cndmask_b32_e64 v1, v1, v13, s0
	v_add_f64 v[12:13], -v[10:11], 1.0
	v_fma_f64 v[32:33], v[6:7], v[32:33], s[10:11]
	v_cmp_eq_u32_e64 s0, 0, v3
	s_waitcnt vmcnt(0)
	v_cmp_class_f64_e64 vcc_lo, v[20:21], 0x1f8
	v_xor_b32_e32 v2, v2, v21
	v_and_b32_e32 v2, 0x80000000, v2
	v_add_f64 v[14:15], -v[12:13], 1.0
	v_fma_f64 v[32:33], v[6:7], v[32:33], s[12:13]
	v_xor_b32_e32 v1, v1, v2
	v_cndmask_b32_e32 v0, 0, v0, vcc_lo
	v_cndmask_b32_e32 v1, 0x7ff80000, v1, vcc_lo
	v_add_f64 v[10:11], v[14:15], -v[10:11]
	v_fma_f64 v[32:33], v[6:7], v[32:33], s[14:15]
	v_mul_f64 v[14:15], v[6:7], v[6:7]
	v_fma_f64 v[10:11], v[27:28], -v[34:35], v[10:11]
	v_fma_f64 v[32:33], v[6:7], v[32:33], s[16:17]
	v_fma_f64 v[10:11], v[14:15], v[32:33], v[10:11]
	v_mul_f64 v[14:15], v[27:28], -v[6:7]
	v_mul_f64 v[32:33], v[34:35], 0.5
	v_add_f64 v[10:11], v[12:13], v[10:11]
	v_fma_f64 v[12:13], v[6:7], s[20:21], s[18:19]
	v_fma_f64 v[12:13], v[6:7], v[12:13], s[22:23]
	;; [unrolled: 1-line block ×5, first 2 shown]
	v_fma_f64 v[6:7], v[6:7], v[12:13], -v[34:35]
	v_fma_f64 v[6:7], v[14:15], s[28:29], v[6:7]
	v_add_f64 v[6:7], v[27:28], -v[6:7]
	v_add_f64 v[27:28], v[54:55], v[54:55]
	v_xor_b32_e32 v2, 0x80000000, v7
	v_cndmask_b32_e64 v3, v6, v10, s0
	v_mul_f64 v[6:7], v[0:1], v[0:1]
	v_cndmask_b32_e64 v2, v2, v11, s0
	v_cmp_gt_f64_e64 s0, s[98:99], v[0:1]
	v_cndmask_b32_e32 v12, 0, v3, vcc_lo
	v_xor_b32_e32 v2, v2, v4
	v_cndmask_b32_e32 v13, 0x7ff80000, v2, vcc_lo
	s_clause 0x1
	buffer_load_dword v2, off, s[100:103], 0 offset:32
	buffer_load_dword v3, off, s[100:103], 0 offset:36
	v_cndmask_b32_e64 v11, v7, 0x3c9cd2b2, s0
	v_cndmask_b32_e64 v10, v6, 0x97d889bc, s0
	v_mul_f64 v[6:7], v[12:13], v[12:13]
	v_cndmask_b32_e64 v1, v1, 0x3e45798e, s0
	v_cndmask_b32_e64 v0, v0, 0xe2308c3a, s0
	v_mul_f64 v[0:1], -v[0:1], v[12:13]
	v_mul_f64 v[6:7], v[8:9], v[6:7]
	v_fma_f64 v[14:15], v[54:55], v[54:55], v[6:7]
	v_fma_f64 v[6:7], v[54:55], v[54:55], -v[27:28]
	v_add_f64 v[32:33], v[8:9], v[6:7]
	v_mul_f64 v[6:7], v[32:33], v[14:15]
	v_mul_f64 v[32:33], v[32:33], -v[52:53]
	v_div_scale_f64 v[34:35], null, v[6:7], v[6:7], 1.0
	v_rcp_f64_e32 v[36:37], v[34:35]
	v_fma_f64 v[38:39], -v[34:35], v[36:37], 1.0
	v_fma_f64 v[36:37], v[36:37], v[38:39], v[36:37]
	v_fma_f64 v[38:39], -v[34:35], v[36:37], 1.0
	v_fma_f64 v[36:37], v[36:37], v[38:39], v[36:37]
	v_div_scale_f64 v[38:39], vcc_lo, 1.0, v[6:7], 1.0
	v_mul_f64 v[40:41], v[38:39], v[36:37]
	v_fma_f64 v[34:35], -v[34:35], v[40:41], v[38:39]
	v_div_fmas_f64 v[34:35], v[34:35], v[36:37], v[40:41]
	v_div_fixup_f64 v[34:35], v[34:35], v[6:7], 1.0
	v_div_scale_f64 v[6:7], null, v[14:15], v[14:15], 1.0
	v_rcp_f64_e32 v[36:37], v[6:7]
	v_fma_f64 v[38:39], -v[6:7], v[36:37], 1.0
	v_fma_f64 v[36:37], v[36:37], v[38:39], v[36:37]
	v_fma_f64 v[38:39], -v[6:7], v[36:37], 1.0
	v_fma_f64 v[36:37], v[36:37], v[38:39], v[36:37]
	v_div_scale_f64 v[38:39], vcc_lo, 1.0, v[14:15], 1.0
	v_mul_f64 v[40:41], v[38:39], v[36:37]
	v_fma_f64 v[6:7], -v[6:7], v[40:41], v[38:39]
	v_div_fmas_f64 v[6:7], v[6:7], v[36:37], v[40:41]
	v_div_fixup_f64 v[6:7], v[6:7], v[14:15], 1.0
	v_fma_f64 v[14:15], v[54:55], -2.0, v[14:15]
	v_mul_f64 v[4:5], v[32:33], v[6:7]
	s_waitcnt vmcnt(0)
	v_mul_f64 v[14:15], v[2:3], v[14:15]
	v_mul_f64 v[32:33], s[8:9], v[27:28]
	v_mul_f64 v[16:17], v[6:7], -v[56:57]
	v_div_scale_f64 v[36:37], null, v[10:11], v[10:11], v[14:15]
	v_rcp_f64_e32 v[38:39], v[36:37]
	v_fma_f64 v[40:41], -v[36:37], v[38:39], 1.0
	v_fma_f64 v[38:39], v[38:39], v[40:41], v[38:39]
	v_fma_f64 v[40:41], -v[36:37], v[38:39], 1.0
	v_fma_f64 v[38:39], v[38:39], v[40:41], v[38:39]
	v_div_scale_f64 v[40:41], vcc_lo, v[14:15], v[10:11], v[14:15]
	v_mul_f64 v[42:43], v[40:41], v[38:39]
	v_fma_f64 v[36:37], -v[36:37], v[42:43], v[40:41]
	v_div_fmas_f64 v[36:37], v[36:37], v[38:39], v[42:43]
	v_div_fixup_f64 v[14:15], v[36:37], v[10:11], v[14:15]
	v_mul_f64 v[10:11], v[10:11], v[10:11]
	v_fma_f64 v[14:15], s[8:9], v[27:28], v[14:15]
	v_div_scale_f64 v[12:13], null, v[10:11], v[10:11], v[58:59]
	v_mul_f64 v[18:19], v[34:35], -v[14:15]
	v_fma_f64 v[14:15], v[54:55], v[54:55], v[8:9]
	v_mul_f64 v[14:15], v[27:28], v[14:15]
	v_fma_f64 v[27:28], -v[2:3], v[32:33], v[14:15]
	s_clause 0x1
	buffer_load_dword v2, off, s[100:103], 0 offset:8
	buffer_load_dword v3, off, s[100:103], 0 offset:12
	v_add_f64 v[32:33], v[52:53], v[52:53]
	v_fma_f64 v[22:23], v[27:28], v[34:35], 1.0
	v_add_f64 v[27:28], v[54:55], -1.0
	v_mul_f64 v[32:33], v[52:53], v[32:33]
	s_waitcnt vmcnt(0)
	v_fma_f64 v[14:15], -v[2:3], v[27:28], v[14:15]
	s_clause 0x1
	buffer_load_dword v2, off, s[100:103], 0 offset:16
	buffer_load_dword v3, off, s[100:103], 0 offset:20
	buffer_store_dword v4, off, s[100:103], 0 offset:24 ; 4-byte Folded Spill
	buffer_store_dword v5, off, s[100:103], 0 offset:28 ; 4-byte Folded Spill
	v_mul_f64 v[27:28], v[27:28], v[32:33]
	v_mul_f64 v[27:28], v[27:28], v[6:7]
	s_waitcnt vmcnt(0)
	v_add_f64 v[14:15], v[14:15], -v[2:3]
	v_fma_f64 v[24:25], v[14:15], v[34:35], -v[27:28]
	v_rcp_f64_e32 v[14:15], v[12:13]
	v_fma_f64 v[27:28], -v[12:13], v[14:15], 1.0
	v_fma_f64 v[14:15], v[14:15], v[27:28], v[14:15]
	v_fma_f64 v[27:28], -v[12:13], v[14:15], 1.0
	v_fma_f64 v[14:15], v[14:15], v[27:28], v[14:15]
	v_div_scale_f64 v[27:28], vcc_lo, v[58:59], v[10:11], v[58:59]
	v_mul_f64 v[32:33], v[27:28], v[14:15]
	v_fma_f64 v[12:13], -v[12:13], v[32:33], v[27:28]
	v_div_fmas_f64 v[12:13], v[12:13], v[14:15], v[32:33]
	v_div_fixup_f64 v[10:11], v[12:13], v[10:11], v[58:59]
	v_add_f64 v[10:11], v[10:11], -v[8:9]
	v_mul_f64 v[0:1], v[10:11], v[0:1]
	v_mul_f64 v[6:7], v[0:1], v[6:7]
	v_mul_f64 v[0:1], v[76:77], v[4:5]
	v_add_f64 v[0:1], |v[54:55]|, |v[0:1]|
	v_add_f64 v[0:1], v[0:1], s[34:35]
	buffer_store_dword v0, off, s[100:103], 0 offset:80 ; 4-byte Folded Spill
	buffer_store_dword v1, off, s[100:103], 0 offset:84 ; 4-byte Folded Spill
	;; [unrolled: 1-line block ×4, first 2 shown]
	v_mul_f64 v[0:1], v[76:77], v[16:17]
	v_add_f64 v[0:1], |v[20:21]|, |v[0:1]|
	v_add_f64 v[0:1], v[0:1], s[34:35]
	buffer_store_dword v0, off, s[100:103], 0 offset:88 ; 4-byte Folded Spill
	buffer_store_dword v1, off, s[100:103], 0 offset:92 ; 4-byte Folded Spill
	;; [unrolled: 1-line block ×4, first 2 shown]
	s_clause 0x1
	buffer_load_dword v2, off, s[100:103], 0 offset:144
	buffer_load_dword v3, off, s[100:103], 0 offset:148
	v_mul_f64 v[0:1], v[76:77], v[18:19]
	s_waitcnt vmcnt(0)
	v_add_f64 v[0:1], |v[2:3]|, |v[0:1]|
	v_add_f64 v[0:1], v[0:1], s[34:35]
	buffer_store_dword v0, off, s[100:103], 0 offset:96 ; 4-byte Folded Spill
	buffer_store_dword v1, off, s[100:103], 0 offset:100 ; 4-byte Folded Spill
	buffer_store_dword v22, off, s[100:103], 0 offset:56 ; 4-byte Folded Spill
	buffer_store_dword v23, off, s[100:103], 0 offset:60 ; 4-byte Folded Spill
	s_clause 0x1
	buffer_load_dword v2, off, s[100:103], 0 offset:152
	buffer_load_dword v3, off, s[100:103], 0 offset:156
	v_mul_f64 v[0:1], v[76:77], -v[22:23]
	s_waitcnt vmcnt(0)
	v_add_f64 v[0:1], |v[2:3]|, |v[0:1]|
	v_add_f64 v[0:1], v[0:1], s[34:35]
	buffer_store_dword v0, off, s[100:103], 0 offset:104 ; 4-byte Folded Spill
	buffer_store_dword v1, off, s[100:103], 0 offset:108 ; 4-byte Folded Spill
	;; [unrolled: 1-line block ×4, first 2 shown]
	v_mul_f64 v[0:1], v[76:77], -v[24:25]
	v_add_f64 v[0:1], |v[52:53]|, |v[0:1]|
	v_add_f64 v[0:1], v[0:1], s[34:35]
	buffer_store_dword v0, off, s[100:103], 0 offset:112 ; 4-byte Folded Spill
	buffer_store_dword v1, off, s[100:103], 0 offset:116 ; 4-byte Folded Spill
	;; [unrolled: 1-line block ×4, first 2 shown]
	v_mul_f64 v[0:1], v[76:77], v[6:7]
	v_add_f64 v[0:1], |v[56:57]|, |v[0:1]|
	v_add_f64 v[0:1], v[0:1], s[34:35]
	buffer_store_dword v0, off, s[100:103], 0 offset:120 ; 4-byte Folded Spill
	buffer_store_dword v1, off, s[100:103], 0 offset:124 ; 4-byte Folded Spill
	s_branch .LBB0_90
.LBB0_87:                               ;   in Loop: Header=BB0_90 Depth=2
	s_or_b32 exec_lo, exec_lo, s2
.LBB0_88:                               ;   in Loop: Header=BB0_90 Depth=2
	s_or_b32 exec_lo, exec_lo, s1
	s_xor_b32 s1, exec_lo, -1
.LBB0_89:                               ;   in Loop: Header=BB0_90 Depth=2
	s_or_b32 exec_lo, exec_lo, s0
	s_and_b32 s0, exec_lo, s1
	s_or_b32 s31, s0, s31
	s_andn2_b32 exec_lo, exec_lo, s31
	s_cbranch_execz .LBB0_138
.LBB0_90:                               ;   Parent Loop BB0_78 Depth=1
                                        ; =>  This Inner Loop Header: Depth=2
	s_clause 0x1
	buffer_load_dword v0, off, s[100:103], 0 offset:40
	buffer_load_dword v1, off, s[100:103], 0 offset:44
	v_mov_b32_e32 v38, v76
	v_mov_b32_e32 v39, v77
                                        ; implicit-def: $vgpr40
                                        ; implicit-def: $vgpr76_vgpr77
	s_waitcnt vmcnt(0)
	v_mul_f64 v[36:37], v[0:1], v[38:39]
	s_clause 0x1
	buffer_load_dword v0, off, s[100:103], 0
	buffer_load_dword v1, off, s[100:103], 0 offset:4
	s_waitcnt vmcnt(0)
	v_fma_f64 v[64:65], v[36:37], s[36:37], v[0:1]
                                        ; implicit-def: $vgpr0_vgpr1
	v_cmp_ngt_f64_e64 s0, 0x41d00000, |v[64:65]|
	v_trig_preop_f64 v[12:13], |v[64:65]|, 0
	v_trig_preop_f64 v[10:11], |v[64:65]|, 1
	v_ldexp_f64 v[14:15], |v[64:65]|, 0xffffff80
	v_trig_preop_f64 v[6:7], |v[64:65]|, 2
	v_and_b32_e32 v29, 0x7fffffff, v65
	s_and_saveexec_b32 s1, s0
	s_xor_b32 s1, exec_lo, s1
	s_cbranch_execz .LBB0_92
; %bb.91:                               ;   in Loop: Header=BB0_90 Depth=2
	v_cmp_le_f64_e64 vcc_lo, 0x7b000000, |v[64:65]|
	s_mov_b32 s2, s56
	s_mov_b32 s91, s89
	v_cndmask_b32_e32 v1, v29, v15, vcc_lo
	v_cndmask_b32_e32 v0, v64, v14, vcc_lo
	v_mul_f64 v[32:33], v[12:13], v[0:1]
	v_mul_f64 v[27:28], v[10:11], v[0:1]
	v_fma_f64 v[34:35], v[12:13], v[0:1], -v[32:33]
	v_add_f64 v[40:41], v[27:28], v[34:35]
	v_add_f64 v[62:63], v[40:41], -v[27:28]
	v_add_f64 v[42:43], v[32:33], v[40:41]
	v_add_f64 v[34:35], v[34:35], -v[62:63]
	v_add_f64 v[62:63], v[40:41], -v[62:63]
	v_ldexp_f64 v[44:45], v[42:43], -2
	v_add_f64 v[32:33], v[42:43], -v[32:33]
	v_add_f64 v[62:63], v[27:28], -v[62:63]
	v_fma_f64 v[27:28], v[10:11], v[0:1], -v[27:28]
	v_add_f64 v[32:33], v[40:41], -v[32:33]
	v_fract_f64_e32 v[60:61], v[44:45]
	v_cmp_neq_f64_e64 vcc_lo, 0x7ff00000, |v[44:45]|
	v_add_f64 v[34:35], v[34:35], v[62:63]
	v_mul_f64 v[62:63], v[6:7], v[0:1]
	v_add_f64 v[66:67], v[62:63], v[27:28]
	v_fma_f64 v[0:1], v[6:7], v[0:1], -v[62:63]
	v_add_f64 v[68:69], v[66:67], v[34:35]
	v_add_f64 v[42:43], v[68:69], -v[66:67]
	v_add_f64 v[40:41], v[32:33], v[68:69]
	v_add_f64 v[34:35], v[34:35], -v[42:43]
	v_add_f64 v[42:43], v[68:69], -v[42:43]
	;; [unrolled: 1-line block ×5, first 2 shown]
	v_add_f64 v[34:35], v[34:35], v[42:43]
	v_add_f64 v[42:43], v[66:67], -v[62:63]
	v_add_f64 v[27:28], v[27:28], -v[42:43]
	;; [unrolled: 1-line block ×4, first 2 shown]
	v_add_f64 v[27:28], v[27:28], v[42:43]
	v_add_f64 v[27:28], v[27:28], v[34:35]
	;; [unrolled: 1-line block ×3, first 2 shown]
	v_ldexp_f64 v[27:28], v[60:61], 2
	v_add_f64 v[0:1], v[32:33], v[0:1]
	v_cndmask_b32_e32 v33, 0, v28, vcc_lo
	v_cndmask_b32_e32 v32, 0, v27, vcc_lo
	v_add_f64 v[27:28], v[40:41], v[32:33]
	v_cmp_gt_f64_e32 vcc_lo, 0, v[27:28]
	v_cndmask_b32_e64 v27, 0, 0x40100000, vcc_lo
	v_add_f64 v[27:28], v[32:33], v[26:27]
	v_add_f64 v[32:33], v[40:41], v[27:28]
	v_cvt_i32_f64_e32 v2, v[32:33]
	v_cvt_f64_i32_e32 v[32:33], v2
	v_add_f64 v[27:28], v[27:28], -v[32:33]
	v_add_f64 v[32:33], v[40:41], v[27:28]
	v_add_f64 v[27:28], v[32:33], -v[27:28]
	v_cmp_le_f64_e32 vcc_lo, 0.5, v[32:33]
	v_add_f64 v[27:28], v[40:41], -v[27:28]
	v_add_co_ci_u32_e64 v40, null, 0, v2, vcc_lo
	v_add_f64 v[0:1], v[0:1], v[27:28]
	v_cndmask_b32_e64 v27, 0, 0x3ff00000, vcc_lo
	v_add_f64 v[27:28], v[32:33], -v[26:27]
	v_add_f64 v[32:33], v[27:28], v[0:1]
	v_add_f64 v[27:28], v[32:33], -v[27:28]
	v_add_f64 v[0:1], v[0:1], -v[27:28]
	v_mul_f64 v[27:28], v[32:33], s[2:3]
	v_fma_f64 v[34:35], v[32:33], s[2:3], -v[27:28]
	v_fma_f64 v[32:33], v[32:33], s[90:91], v[34:35]
	v_fma_f64 v[0:1], v[0:1], s[2:3], v[32:33]
	v_add_f64 v[76:77], v[27:28], v[0:1]
	v_add_f64 v[27:28], v[76:77], -v[27:28]
	v_add_f64 v[0:1], v[0:1], -v[27:28]
	s_andn2_saveexec_b32 s1, s1
	s_cbranch_execz .LBB0_94
	s_branch .LBB0_93
.LBB0_92:                               ;   in Loop: Header=BB0_90 Depth=2
	s_andn2_saveexec_b32 s1, s1
	s_cbranch_execz .LBB0_94
.LBB0_93:                               ;   in Loop: Header=BB0_90 Depth=2
	v_mul_f64 v[0:1], |v[64:65]|, s[92:93]
	s_mov_b32 s88, s94
	v_rndne_f64_e32 v[27:28], v[0:1]
	v_fma_f64 v[0:1], v[27:28], s[56:57], |v[64:65]|
	v_mul_f64 v[32:33], v[27:28], s[94:95]
	v_fma_f64 v[40:41], v[27:28], s[94:95], v[0:1]
	v_add_f64 v[34:35], v[0:1], v[32:33]
	v_add_f64 v[0:1], v[0:1], -v[34:35]
	v_add_f64 v[34:35], v[34:35], -v[40:41]
	v_add_f64 v[0:1], v[0:1], v[32:33]
	v_fma_f64 v[32:33], v[27:28], s[88:89], v[32:33]
	v_add_f64 v[0:1], v[34:35], v[0:1]
	v_add_f64 v[0:1], v[0:1], -v[32:33]
	v_fma_f64 v[0:1], v[27:28], s[96:97], v[0:1]
	v_add_f64 v[76:77], v[40:41], v[0:1]
	v_add_f64 v[32:33], v[76:77], -v[40:41]
	v_cvt_i32_f64_e32 v40, v[27:28]
	v_add_f64 v[0:1], v[0:1], -v[32:33]
.LBB0_94:                               ;   in Loop: Header=BB0_90 Depth=2
	s_or_b32 exec_lo, exec_lo, s1
                                        ; implicit-def: $vgpr34
                                        ; implicit-def: $vgpr27_vgpr28
                                        ; implicit-def: $vgpr32_vgpr33
	s_and_saveexec_b32 s1, s0
	s_xor_b32 s0, exec_lo, s1
	s_cbranch_execz .LBB0_96
; %bb.95:                               ;   in Loop: Header=BB0_90 Depth=2
	v_cmp_le_f64_e64 vcc_lo, 0x7b000000, |v[64:65]|
	s_mov_b32 s2, s56
	s_mov_b32 s91, s89
	v_cndmask_b32_e32 v15, v29, v15, vcc_lo
	v_cndmask_b32_e32 v14, v64, v14, vcc_lo
	v_mul_f64 v[32:33], v[12:13], v[14:15]
	v_mul_f64 v[27:28], v[10:11], v[14:15]
	v_fma_f64 v[12:13], v[12:13], v[14:15], -v[32:33]
	v_fma_f64 v[10:11], v[10:11], v[14:15], -v[27:28]
	v_add_f64 v[34:35], v[27:28], v[12:13]
	v_add_f64 v[62:63], v[34:35], -v[27:28]
	v_add_f64 v[41:42], v[32:33], v[34:35]
	v_add_f64 v[12:13], v[12:13], -v[62:63]
	v_add_f64 v[62:63], v[34:35], -v[62:63]
	v_ldexp_f64 v[43:44], v[41:42], -2
	v_add_f64 v[32:33], v[41:42], -v[32:33]
	v_add_f64 v[62:63], v[27:28], -v[62:63]
	v_mul_f64 v[27:28], v[6:7], v[14:15]
	v_fract_f64_e32 v[60:61], v[43:44]
	v_add_f64 v[32:33], v[34:35], -v[32:33]
	v_cmp_neq_f64_e64 vcc_lo, 0x7ff00000, |v[43:44]|
	v_add_f64 v[12:13], v[12:13], v[62:63]
	v_add_f64 v[62:63], v[27:28], v[10:11]
	v_fma_f64 v[6:7], v[6:7], v[14:15], -v[27:28]
	v_add_f64 v[66:67], v[62:63], v[12:13]
	v_add_f64 v[41:42], v[66:67], -v[62:63]
	v_add_f64 v[34:35], v[32:33], v[66:67]
	v_add_f64 v[12:13], v[12:13], -v[41:42]
	v_add_f64 v[41:42], v[66:67], -v[41:42]
	;; [unrolled: 1-line block ×5, first 2 shown]
	v_add_f64 v[12:13], v[12:13], v[41:42]
	v_add_f64 v[41:42], v[62:63], -v[27:28]
	v_add_f64 v[10:11], v[10:11], -v[41:42]
	;; [unrolled: 1-line block ×4, first 2 shown]
	v_add_f64 v[10:11], v[10:11], v[41:42]
	v_add_f64 v[10:11], v[10:11], v[12:13]
	;; [unrolled: 1-line block ×3, first 2 shown]
	v_ldexp_f64 v[10:11], v[60:61], 2
	v_add_f64 v[6:7], v[32:33], v[6:7]
	v_cndmask_b32_e32 v11, 0, v11, vcc_lo
	v_cndmask_b32_e32 v10, 0, v10, vcc_lo
	v_add_f64 v[12:13], v[34:35], v[10:11]
	v_cmp_gt_f64_e32 vcc_lo, 0, v[12:13]
	v_cndmask_b32_e64 v27, 0, 0x40100000, vcc_lo
	v_add_f64 v[10:11], v[10:11], v[26:27]
	v_add_f64 v[12:13], v[34:35], v[10:11]
	v_cvt_i32_f64_e32 v2, v[12:13]
	v_cvt_f64_i32_e32 v[12:13], v2
	v_add_f64 v[10:11], v[10:11], -v[12:13]
	v_add_f64 v[12:13], v[34:35], v[10:11]
	v_add_f64 v[10:11], v[12:13], -v[10:11]
	v_cmp_le_f64_e32 vcc_lo, 0.5, v[12:13]
	v_add_f64 v[10:11], v[34:35], -v[10:11]
	v_cndmask_b32_e64 v27, 0, 0x3ff00000, vcc_lo
	v_add_co_ci_u32_e64 v34, null, 0, v2, vcc_lo
	v_add_f64 v[6:7], v[6:7], v[10:11]
	v_add_f64 v[10:11], v[12:13], -v[26:27]
	v_add_f64 v[12:13], v[10:11], v[6:7]
	v_add_f64 v[10:11], v[12:13], -v[10:11]
	v_add_f64 v[6:7], v[6:7], -v[10:11]
	v_mul_f64 v[10:11], v[12:13], s[2:3]
	v_fma_f64 v[14:15], v[12:13], s[2:3], -v[10:11]
	v_fma_f64 v[12:13], v[12:13], s[90:91], v[14:15]
	v_fma_f64 v[6:7], v[6:7], s[2:3], v[12:13]
	v_add_f64 v[27:28], v[10:11], v[6:7]
	v_add_f64 v[10:11], v[27:28], -v[10:11]
	v_add_f64 v[32:33], v[6:7], -v[10:11]
	s_andn2_saveexec_b32 s0, s0
	s_cbranch_execnz .LBB0_97
	s_branch .LBB0_98
.LBB0_96:                               ;   in Loop: Header=BB0_90 Depth=2
	s_andn2_saveexec_b32 s0, s0
	s_cbranch_execz .LBB0_98
.LBB0_97:                               ;   in Loop: Header=BB0_90 Depth=2
	v_mul_f64 v[6:7], |v[64:65]|, s[92:93]
	s_mov_b32 s88, s94
	v_rndne_f64_e32 v[6:7], v[6:7]
	v_fma_f64 v[10:11], v[6:7], s[56:57], |v[64:65]|
	v_mul_f64 v[12:13], v[6:7], s[94:95]
	v_cvt_i32_f64_e32 v34, v[6:7]
	v_fma_f64 v[32:33], v[6:7], s[94:95], v[10:11]
	v_add_f64 v[14:15], v[10:11], v[12:13]
	v_add_f64 v[10:11], v[10:11], -v[14:15]
	v_add_f64 v[14:15], v[14:15], -v[32:33]
	v_add_f64 v[10:11], v[10:11], v[12:13]
	v_fma_f64 v[12:13], v[6:7], s[88:89], v[12:13]
	v_add_f64 v[10:11], v[14:15], v[10:11]
	v_add_f64 v[10:11], v[10:11], -v[12:13]
	v_fma_f64 v[10:11], v[6:7], s[96:97], v[10:11]
	v_add_f64 v[27:28], v[32:33], v[10:11]
	v_add_f64 v[12:13], v[27:28], -v[32:33]
	v_add_f64 v[32:33], v[10:11], -v[12:13]
.LBB0_98:                               ;   in Loop: Header=BB0_90 Depth=2
	s_or_b32 exec_lo, exec_lo, s0
	s_clause 0x1
	buffer_load_dword v2, off, s[100:103], 0 offset:24
	buffer_load_dword v3, off, s[100:103], 0 offset:28
	v_mul_f64 v[6:7], v[27:28], v[27:28]
	v_mul_f64 v[43:44], v[32:33], 0.5
	s_mov_b32 s28, s16
	v_cmp_class_f64_e64 s0, v[64:65], 0x1f8
                                        ; implicit-def: $vgpr94_vgpr95
                                        ; implicit-def: $vgpr96_vgpr97
	v_fma_f64 v[10:11], v[6:7], s[20:21], s[18:19]
	v_fma_f64 v[12:13], v[6:7], s[6:7], s[4:5]
	v_mul_f64 v[14:15], v[6:7], 0.5
	v_mul_f64 v[60:61], v[27:28], -v[6:7]
	v_fma_f64 v[10:11], v[6:7], v[10:11], s[22:23]
	v_fma_f64 v[12:13], v[6:7], v[12:13], s[10:11]
	v_add_f64 v[41:42], -v[14:15], 1.0
	v_fma_f64 v[10:11], v[6:7], v[10:11], s[24:25]
	v_fma_f64 v[12:13], v[6:7], v[12:13], s[12:13]
	v_add_f64 v[62:63], -v[41:42], 1.0
	v_fma_f64 v[10:11], v[6:7], v[10:11], s[26:27]
	v_fma_f64 v[12:13], v[6:7], v[12:13], s[14:15]
	v_add_f64 v[14:15], v[62:63], -v[14:15]
	v_fma_f64 v[10:11], v[60:61], v[10:11], v[43:44]
	v_mul_f64 v[43:44], v[6:7], v[6:7]
	v_fma_f64 v[12:13], v[6:7], v[12:13], s[16:17]
	v_fma_f64 v[14:15], v[27:28], -v[32:33], v[14:15]
	v_fma_f64 v[6:7], v[6:7], v[10:11], -v[32:33]
	v_fma_f64 v[10:11], v[43:44], v[12:13], v[14:15]
	v_fma_f64 v[6:7], v[60:61], s[28:29], v[6:7]
	v_add_f64 v[10:11], v[41:42], v[10:11]
                                        ; implicit-def: $vgpr42
	v_add_f64 v[6:7], v[27:28], -v[6:7]
	v_xor_b32_e32 v4, 0x80000000, v7
	s_waitcnt vmcnt(0)
	v_mul_f64 v[62:63], v[2:3], v[38:39]
	v_and_b32_e32 v2, 1, v34
	v_lshlrev_b32_e32 v3, 30, v34
	v_cmp_eq_u32_e32 vcc_lo, 0, v2
	v_and_b32_e32 v3, 0x80000000, v3
	v_cndmask_b32_e32 v4, v4, v11, vcc_lo
	v_cndmask_b32_e32 v2, v6, v10, vcc_lo
	v_xor_b32_e32 v3, v4, v3
	v_cndmask_b32_e64 v6, 0, v2, s0
	v_cndmask_b32_e64 v7, 0x7ff80000, v3, s0
	s_clause 0x1
	buffer_load_dword v2, off, s[100:103], 0 offset:72
	buffer_load_dword v3, off, s[100:103], 0 offset:76
	v_fma_f64 v[69:70], v[62:63], s[36:37], v[54:55]
	v_mul_f64 v[10:11], v[6:7], v[6:7]
	v_mul_f64 v[86:87], v[69:70], v[69:70]
	v_fma_f64 v[92:93], v[8:9], v[10:11], v[86:87]
	v_div_scale_f64 v[10:11], null, v[92:93], v[92:93], 1.0
	v_div_scale_f64 v[27:28], vcc_lo, 1.0, v[92:93], 1.0
	v_rcp_f64_e32 v[12:13], v[10:11]
	v_fma_f64 v[14:15], -v[10:11], v[12:13], 1.0
	v_fma_f64 v[12:13], v[12:13], v[14:15], v[12:13]
	v_fma_f64 v[14:15], -v[10:11], v[12:13], 1.0
	v_fma_f64 v[12:13], v[12:13], v[14:15], v[12:13]
	v_mul_f64 v[14:15], v[27:28], v[12:13]
	v_fma_f64 v[10:11], -v[10:11], v[14:15], v[27:28]
	v_div_fmas_f64 v[10:11], v[10:11], v[12:13], v[14:15]
	v_div_fixup_f64 v[71:72], v[10:11], v[92:93], 1.0
	s_waitcnt vmcnt(0)
	v_mul_f64 v[60:61], v[2:3], v[38:39]
	s_clause 0x1
	buffer_load_dword v2, off, s[100:103], 0
	buffer_load_dword v3, off, s[100:103], 0 offset:4
	v_fma_f64 v[12:13], v[60:61], s[36:37], v[56:57]
	v_mul_f64 v[10:11], v[71:72], -v[12:13]
	v_mul_f64 v[74:75], v[38:39], v[10:11]
	s_waitcnt vmcnt(0)
	v_fma_f64 v[12:13], v[36:37], s[44:45], v[2:3]
	v_fma_f64 v[67:68], v[74:75], s[42:43], v[12:13]
	v_cmp_ngt_f64_e64 s1, 0x41d00000, |v[67:68]|
	v_trig_preop_f64 v[28:29], |v[67:68]|, 0
	v_trig_preop_f64 v[14:15], |v[67:68]|, 1
	v_ldexp_f64 v[32:33], |v[67:68]|, 0xffffff80
	v_trig_preop_f64 v[10:11], |v[67:68]|, 2
	v_and_b32_e32 v43, 0x7fffffff, v68
	s_and_saveexec_b32 s2, s1
	s_xor_b32 s28, exec_lo, s2
	s_cbranch_execz .LBB0_100
; %bb.99:                               ;   in Loop: Header=BB0_90 Depth=2
	v_cmp_le_f64_e64 vcc_lo, 0x7b000000, |v[67:68]|
	s_mov_b32 s2, s56
	s_mov_b32 s91, s89
	v_cndmask_b32_e32 v13, v43, v33, vcc_lo
	v_cndmask_b32_e32 v12, v67, v32, vcc_lo
	v_mul_f64 v[41:42], v[28:29], v[12:13]
	v_mul_f64 v[34:35], v[14:15], v[12:13]
	v_fma_f64 v[44:45], v[28:29], v[12:13], -v[41:42]
	v_add_f64 v[78:79], v[34:35], v[44:45]
	v_add_f64 v[88:89], v[78:79], -v[34:35]
	v_add_f64 v[80:81], v[41:42], v[78:79]
	v_add_f64 v[44:45], v[44:45], -v[88:89]
	v_add_f64 v[88:89], v[78:79], -v[88:89]
	v_ldexp_f64 v[82:83], v[80:81], -2
	v_add_f64 v[41:42], v[80:81], -v[41:42]
	v_add_f64 v[88:89], v[34:35], -v[88:89]
	v_fma_f64 v[34:35], v[14:15], v[12:13], -v[34:35]
	v_add_f64 v[41:42], v[78:79], -v[41:42]
	v_fract_f64_e32 v[84:85], v[82:83]
	v_cmp_neq_f64_e64 vcc_lo, 0x7ff00000, |v[82:83]|
	v_add_f64 v[44:45], v[44:45], v[88:89]
	v_mul_f64 v[88:89], v[10:11], v[12:13]
	v_add_f64 v[90:91], v[88:89], v[34:35]
	v_fma_f64 v[12:13], v[10:11], v[12:13], -v[88:89]
	v_add_f64 v[94:95], v[90:91], v[44:45]
	v_add_f64 v[80:81], v[94:95], -v[90:91]
	v_add_f64 v[78:79], v[41:42], v[94:95]
	v_add_f64 v[44:45], v[44:45], -v[80:81]
	v_add_f64 v[80:81], v[94:95], -v[80:81]
	;; [unrolled: 1-line block ×5, first 2 shown]
	v_add_f64 v[44:45], v[44:45], v[80:81]
	v_add_f64 v[80:81], v[90:91], -v[88:89]
	v_add_f64 v[34:35], v[34:35], -v[80:81]
	;; [unrolled: 1-line block ×4, first 2 shown]
	v_add_f64 v[34:35], v[34:35], v[80:81]
	v_add_f64 v[34:35], v[34:35], v[44:45]
	;; [unrolled: 1-line block ×3, first 2 shown]
	v_ldexp_f64 v[34:35], v[84:85], 2
	v_add_f64 v[12:13], v[41:42], v[12:13]
	v_cndmask_b32_e32 v35, 0, v35, vcc_lo
	v_cndmask_b32_e32 v34, 0, v34, vcc_lo
	v_add_f64 v[41:42], v[78:79], v[34:35]
	v_cmp_gt_f64_e32 vcc_lo, 0, v[41:42]
	v_cndmask_b32_e64 v27, 0, 0x40100000, vcc_lo
	v_add_f64 v[34:35], v[34:35], v[26:27]
	v_add_f64 v[41:42], v[78:79], v[34:35]
	v_cvt_i32_f64_e32 v2, v[41:42]
	v_cvt_f64_i32_e32 v[41:42], v2
	v_add_f64 v[34:35], v[34:35], -v[41:42]
	v_add_f64 v[44:45], v[78:79], v[34:35]
	v_add_f64 v[34:35], v[44:45], -v[34:35]
	v_cmp_le_f64_e32 vcc_lo, 0.5, v[44:45]
	v_add_f64 v[34:35], v[78:79], -v[34:35]
	v_cndmask_b32_e64 v27, 0, 0x3ff00000, vcc_lo
	v_add_co_ci_u32_e64 v42, null, 0, v2, vcc_lo
	v_add_f64 v[12:13], v[12:13], v[34:35]
	v_add_f64 v[34:35], v[44:45], -v[26:27]
	v_add_f64 v[44:45], v[34:35], v[12:13]
	v_add_f64 v[34:35], v[44:45], -v[34:35]
	v_add_f64 v[12:13], v[12:13], -v[34:35]
	v_mul_f64 v[34:35], v[44:45], s[2:3]
	v_fma_f64 v[78:79], v[44:45], s[2:3], -v[34:35]
	v_fma_f64 v[44:45], v[44:45], s[90:91], v[78:79]
	v_fma_f64 v[12:13], v[12:13], s[2:3], v[44:45]
	v_add_f64 v[94:95], v[34:35], v[12:13]
	v_add_f64 v[34:35], v[94:95], -v[34:35]
	v_add_f64 v[96:97], v[12:13], -v[34:35]
	s_andn2_saveexec_b32 s2, s28
	s_cbranch_execz .LBB0_102
	s_branch .LBB0_101
.LBB0_100:                              ;   in Loop: Header=BB0_90 Depth=2
	s_andn2_saveexec_b32 s2, s28
	s_cbranch_execz .LBB0_102
.LBB0_101:                              ;   in Loop: Header=BB0_90 Depth=2
	v_mul_f64 v[12:13], |v[67:68]|, s[92:93]
	s_mov_b32 s88, s94
	v_rndne_f64_e32 v[12:13], v[12:13]
	v_fma_f64 v[34:35], v[12:13], s[56:57], |v[67:68]|
	v_mul_f64 v[41:42], v[12:13], s[94:95]
	v_fma_f64 v[78:79], v[12:13], s[94:95], v[34:35]
	v_add_f64 v[44:45], v[34:35], v[41:42]
	v_add_f64 v[34:35], v[34:35], -v[44:45]
	v_add_f64 v[44:45], v[44:45], -v[78:79]
	v_add_f64 v[34:35], v[34:35], v[41:42]
	v_fma_f64 v[41:42], v[12:13], s[88:89], v[41:42]
	v_add_f64 v[34:35], v[44:45], v[34:35]
	v_add_f64 v[34:35], v[34:35], -v[41:42]
	v_fma_f64 v[34:35], v[12:13], s[96:97], v[34:35]
	v_add_f64 v[94:95], v[78:79], v[34:35]
	v_add_f64 v[41:42], v[94:95], -v[78:79]
	v_add_f64 v[96:97], v[34:35], -v[41:42]
	v_cvt_i32_f64_e32 v42, v[12:13]
.LBB0_102:                              ;   in Loop: Header=BB0_90 Depth=2
	s_or_b32 exec_lo, exec_lo, s2
                                        ; implicit-def: $vgpr41
                                        ; implicit-def: $vgpr12_vgpr13
                                        ; implicit-def: $vgpr34_vgpr35
	s_and_saveexec_b32 s2, s1
	s_xor_b32 s1, exec_lo, s2
	s_cbranch_execz .LBB0_104
; %bb.103:                              ;   in Loop: Header=BB0_90 Depth=2
	v_cmp_le_f64_e64 vcc_lo, 0x7b000000, |v[67:68]|
	s_mov_b32 s2, s56
	s_mov_b32 s91, s89
	v_cndmask_b32_e32 v13, v43, v33, vcc_lo
	v_cndmask_b32_e32 v12, v67, v32, vcc_lo
	v_mul_f64 v[34:35], v[28:29], v[12:13]
	v_mul_f64 v[32:33], v[14:15], v[12:13]
	v_fma_f64 v[27:28], v[28:29], v[12:13], -v[34:35]
	v_fma_f64 v[14:15], v[14:15], v[12:13], -v[32:33]
	v_add_f64 v[43:44], v[32:33], v[27:28]
	v_add_f64 v[84:85], v[43:44], -v[32:33]
	v_add_f64 v[78:79], v[34:35], v[43:44]
	v_add_f64 v[27:28], v[27:28], -v[84:85]
	v_add_f64 v[84:85], v[43:44], -v[84:85]
	v_ldexp_f64 v[80:81], v[78:79], -2
	v_add_f64 v[34:35], v[78:79], -v[34:35]
	v_add_f64 v[84:85], v[32:33], -v[84:85]
	v_mul_f64 v[32:33], v[10:11], v[12:13]
	v_fract_f64_e32 v[82:83], v[80:81]
	v_add_f64 v[34:35], v[43:44], -v[34:35]
	v_cmp_neq_f64_e64 vcc_lo, 0x7ff00000, |v[80:81]|
	v_add_f64 v[27:28], v[27:28], v[84:85]
	v_add_f64 v[84:85], v[32:33], v[14:15]
	v_fma_f64 v[10:11], v[10:11], v[12:13], -v[32:33]
	v_ldexp_f64 v[12:13], v[82:83], 2
	v_add_f64 v[88:89], v[84:85], v[27:28]
	v_cndmask_b32_e32 v13, 0, v13, vcc_lo
	v_cndmask_b32_e32 v12, 0, v12, vcc_lo
	v_add_f64 v[78:79], v[88:89], -v[84:85]
	v_add_f64 v[43:44], v[34:35], v[88:89]
	v_add_f64 v[27:28], v[27:28], -v[78:79]
	v_add_f64 v[78:79], v[88:89], -v[78:79]
	;; [unrolled: 1-line block ×5, first 2 shown]
	v_add_f64 v[27:28], v[27:28], v[78:79]
	v_add_f64 v[78:79], v[84:85], -v[32:33]
	v_add_f64 v[14:15], v[14:15], -v[78:79]
	;; [unrolled: 1-line block ×4, first 2 shown]
	v_add_f64 v[14:15], v[14:15], v[78:79]
	v_add_f64 v[14:15], v[14:15], v[27:28]
	v_add_f64 v[10:11], v[10:11], v[14:15]
	v_add_f64 v[14:15], v[43:44], v[12:13]
	v_add_f64 v[10:11], v[34:35], v[10:11]
	v_cmp_gt_f64_e32 vcc_lo, 0, v[14:15]
	v_cndmask_b32_e64 v27, 0, 0x40100000, vcc_lo
	v_add_f64 v[12:13], v[12:13], v[26:27]
	v_add_f64 v[14:15], v[43:44], v[12:13]
	v_cvt_i32_f64_e32 v2, v[14:15]
	v_cvt_f64_i32_e32 v[14:15], v2
	v_add_f64 v[12:13], v[12:13], -v[14:15]
	v_add_f64 v[14:15], v[43:44], v[12:13]
	v_add_f64 v[12:13], v[14:15], -v[12:13]
	v_cmp_le_f64_e32 vcc_lo, 0.5, v[14:15]
	v_add_f64 v[12:13], v[43:44], -v[12:13]
	v_cndmask_b32_e64 v27, 0, 0x3ff00000, vcc_lo
	v_add_co_ci_u32_e64 v41, null, 0, v2, vcc_lo
	v_add_f64 v[10:11], v[10:11], v[12:13]
	v_add_f64 v[12:13], v[14:15], -v[26:27]
	v_add_f64 v[14:15], v[12:13], v[10:11]
	v_add_f64 v[12:13], v[14:15], -v[12:13]
	v_mul_f64 v[27:28], v[14:15], s[2:3]
	v_add_f64 v[10:11], v[10:11], -v[12:13]
	v_fma_f64 v[12:13], v[14:15], s[2:3], -v[27:28]
	v_fma_f64 v[12:13], v[14:15], s[90:91], v[12:13]
	v_fma_f64 v[10:11], v[10:11], s[2:3], v[12:13]
	v_add_f64 v[12:13], v[27:28], v[10:11]
	v_add_f64 v[14:15], v[12:13], -v[27:28]
	v_add_f64 v[34:35], v[10:11], -v[14:15]
	s_andn2_saveexec_b32 s1, s1
	s_cbranch_execnz .LBB0_105
	s_branch .LBB0_106
.LBB0_104:                              ;   in Loop: Header=BB0_90 Depth=2
	s_andn2_saveexec_b32 s1, s1
	s_cbranch_execz .LBB0_106
.LBB0_105:                              ;   in Loop: Header=BB0_90 Depth=2
	v_mul_f64 v[10:11], |v[67:68]|, s[92:93]
	s_mov_b32 s88, s94
	v_rndne_f64_e32 v[10:11], v[10:11]
	v_fma_f64 v[12:13], v[10:11], s[56:57], |v[67:68]|
	v_mul_f64 v[14:15], v[10:11], s[94:95]
	v_cvt_i32_f64_e32 v41, v[10:11]
	v_fma_f64 v[32:33], v[10:11], s[94:95], v[12:13]
	v_add_f64 v[27:28], v[12:13], v[14:15]
	v_add_f64 v[12:13], v[12:13], -v[27:28]
	v_add_f64 v[27:28], v[27:28], -v[32:33]
	v_add_f64 v[12:13], v[12:13], v[14:15]
	v_fma_f64 v[14:15], v[10:11], s[88:89], v[14:15]
	v_add_f64 v[12:13], v[27:28], v[12:13]
	v_add_f64 v[12:13], v[12:13], -v[14:15]
	v_fma_f64 v[14:15], v[10:11], s[96:97], v[12:13]
	v_add_f64 v[12:13], v[32:33], v[14:15]
	v_add_f64 v[27:28], v[12:13], -v[32:33]
	v_add_f64 v[34:35], v[14:15], -v[27:28]
.LBB0_106:                              ;   in Loop: Header=BB0_90 Depth=2
	s_or_b32 exec_lo, exec_lo, s1
	v_mul_f64 v[27:28], v[76:77], v[76:77]
	v_mul_f64 v[78:79], v[0:1], 0.5
	s_mov_b32 s28, s16
	v_and_b32_e32 v2, 1, v40
	s_mov_b32 s40, s42
	s_mov_b32 s38, s44
                                        ; implicit-def: $vgpr109_vgpr110
                                        ; implicit-def: $vgpr111_vgpr112
	v_cmp_eq_u32_e32 vcc_lo, 0, v2
	v_lshlrev_b32_e32 v2, 30, v40
	v_xor_b32_e32 v2, v2, v65
	v_and_b32_e32 v2, 0x80000000, v2
	v_mul_f64 v[14:15], v[27:28], 0.5
	v_add_f64 v[10:11], -v[14:15], 1.0
	v_add_f64 v[32:33], -v[10:11], 1.0
	v_add_f64 v[32:33], v[32:33], -v[14:15]
	v_fma_f64 v[14:15], v[27:28], s[20:21], s[18:19]
	v_fma_f64 v[32:33], v[76:77], -v[0:1], v[32:33]
	v_fma_f64 v[14:15], v[27:28], v[14:15], s[22:23]
	v_fma_f64 v[14:15], v[27:28], v[14:15], s[24:25]
	;; [unrolled: 1-line block ×3, first 2 shown]
	v_mul_f64 v[14:15], v[76:77], -v[27:28]
	v_fma_f64 v[43:44], v[14:15], v[43:44], v[78:79]
	v_fma_f64 v[0:1], v[27:28], v[43:44], -v[0:1]
	v_fma_f64 v[43:44], v[27:28], s[6:7], s[4:5]
	v_fma_f64 v[0:1], v[14:15], s[28:29], v[0:1]
	;; [unrolled: 1-line block ×3, first 2 shown]
	v_add_f64 v[0:1], v[76:77], -v[0:1]
	v_fma_f64 v[43:44], v[27:28], v[43:44], s[12:13]
	v_fma_f64 v[43:44], v[27:28], v[43:44], s[14:15]
	;; [unrolled: 1-line block ×3, first 2 shown]
	v_mul_f64 v[27:28], v[27:28], v[27:28]
	v_fma_f64 v[27:28], v[27:28], v[43:44], v[32:33]
	v_mul_f64 v[32:33], v[12:13], v[12:13]
	v_add_f64 v[10:11], v[10:11], v[27:28]
	v_mul_f64 v[43:44], v[32:33], 0.5
	v_mul_f64 v[82:83], v[32:33], v[32:33]
	v_mul_f64 v[84:85], v[12:13], -v[32:33]
	v_cndmask_b32_e32 v1, v11, v1, vcc_lo
	v_add_f64 v[78:79], -v[43:44], 1.0
	v_cndmask_b32_e32 v0, v10, v0, vcc_lo
	v_xor_b32_e32 v1, v1, v2
	v_and_b32_e32 v2, 1, v41
	v_cndmask_b32_e64 v14, 0, v0, s0
	v_cndmask_b32_e64 v15, 0x7ff80000, v1, s0
	v_cmp_class_f64_e64 s0, v[67:68], 0x1f8
	v_mul_f64 v[0:1], v[14:15], v[14:15]
	v_cmp_gt_f64_e64 s1, s[98:99], v[14:15]
	v_add_f64 v[80:81], -v[78:79], 1.0
	v_cndmask_b32_e64 v1, v1, 0x3c9cd2b2, s1
	v_cndmask_b32_e64 v0, v0, 0x97d889bc, s1
	;; [unrolled: 1-line block ×4, first 2 shown]
	v_mul_f64 v[27:28], v[0:1], v[0:1]
	v_add_f64 v[43:44], v[80:81], -v[43:44]
	v_fma_f64 v[80:81], v[32:33], s[6:7], s[4:5]
	v_mul_f64 v[6:7], -v[14:15], v[6:7]
	v_div_scale_f64 v[0:1], null, v[27:28], v[27:28], v[58:59]
	v_fma_f64 v[80:81], v[32:33], v[80:81], s[10:11]
	v_fma_f64 v[43:44], v[12:13], -v[34:35], v[43:44]
	v_rcp_f64_e32 v[10:11], v[0:1]
	v_fma_f64 v[80:81], v[32:33], v[80:81], s[12:13]
	v_fma_f64 v[80:81], v[32:33], v[80:81], s[14:15]
	;; [unrolled: 1-line block ×5, first 2 shown]
	v_mul_f64 v[82:83], v[34:35], 0.5
	v_fma_f64 v[80:81], v[32:33], v[80:81], s[22:23]
	v_fma_f64 v[80:81], v[32:33], v[80:81], s[24:25]
	;; [unrolled: 1-line block ×4, first 2 shown]
	v_fma_f64 v[32:33], v[32:33], v[80:81], -v[34:35]
	v_fma_f64 v[34:35], -v[0:1], v[10:11], 1.0
	v_fma_f64 v[10:11], v[10:11], v[34:35], v[10:11]
	v_fma_f64 v[34:35], -v[0:1], v[10:11], 1.0
	v_fma_f64 v[10:11], v[10:11], v[34:35], v[10:11]
	v_div_scale_f64 v[34:35], vcc_lo, v[58:59], v[27:28], v[58:59]
	v_mul_f64 v[64:65], v[34:35], v[10:11]
	v_fma_f64 v[0:1], -v[0:1], v[64:65], v[34:35]
	v_div_fmas_f64 v[34:35], v[0:1], v[10:11], v[64:65]
	v_fma_f64 v[0:1], v[84:85], s[28:29], v[32:33]
	v_add_f64 v[10:11], v[78:79], v[43:44]
	v_cmp_eq_u32_e32 vcc_lo, 0, v2
	v_lshlrev_b32_e32 v2, 30, v41
	v_and_b32_e32 v2, 0x80000000, v2
	v_div_fixup_f64 v[27:28], v[34:35], v[27:28], v[58:59]
	v_add_f64 v[0:1], v[12:13], -v[0:1]
	v_add_f64 v[14:15], v[27:28], -v[8:9]
	v_xor_b32_e32 v1, 0x80000000, v1
	v_cndmask_b32_e32 v0, v0, v10, vcc_lo
	v_cndmask_b32_e32 v1, v1, v11, vcc_lo
	v_cndmask_b32_e64 v10, 0, v0, s0
	v_xor_b32_e32 v1, v1, v2
	v_cndmask_b32_e64 v11, 0x7ff80000, v1, s0
	v_fma_f64 v[0:1], v[69:70], -2.0, v[86:87]
	v_mul_f64 v[6:7], v[14:15], v[6:7]
	v_add_f64 v[12:13], v[8:9], v[0:1]
	s_clause 0x3
	buffer_load_dword v0, off, s[100:103], 0 offset:64
	buffer_load_dword v1, off, s[100:103], 0 offset:68
	buffer_load_dword v2, off, s[100:103], 0
	buffer_load_dword v3, off, s[100:103], 0 offset:4
	v_mul_f64 v[6:7], v[6:7], v[71:72]
	v_mul_f64 v[80:81], v[38:39], v[6:7]
	v_fma_f64 v[6:7], v[60:61], s[44:45], v[56:57]
	v_fma_f64 v[6:7], v[80:81], s[42:43], v[6:7]
	s_waitcnt vmcnt(2)
	v_mul_f64 v[64:65], v[38:39], -v[0:1]
	v_fma_f64 v[0:1], v[64:65], s[36:37], v[52:53]
	v_mul_f64 v[32:33], v[12:13], -v[0:1]
	v_mul_f64 v[32:33], v[32:33], v[71:72]
	v_mul_f64 v[76:77], v[38:39], v[32:33]
	v_fma_f64 v[32:33], v[62:63], s[44:45], v[54:55]
	v_fma_f64 v[82:83], v[76:77], s[42:43], v[32:33]
	v_mul_f64 v[32:33], v[10:11], v[10:11]
	v_mul_f64 v[88:89], v[82:83], v[82:83]
	v_fma_f64 v[84:85], v[8:9], v[32:33], v[88:89]
	v_div_scale_f64 v[32:33], null, v[84:85], v[84:85], 1.0
	v_rcp_f64_e32 v[40:41], v[32:33]
	v_fma_f64 v[43:44], -v[32:33], v[40:41], 1.0
	v_fma_f64 v[40:41], v[40:41], v[43:44], v[40:41]
	v_fma_f64 v[43:44], -v[32:33], v[40:41], 1.0
	v_fma_f64 v[40:41], v[40:41], v[43:44], v[40:41]
	v_div_scale_f64 v[43:44], vcc_lo, 1.0, v[84:85], 1.0
	v_mul_f64 v[66:67], v[43:44], v[40:41]
	v_fma_f64 v[32:33], -v[32:33], v[66:67], v[43:44]
                                        ; implicit-def: $vgpr43
	v_div_fmas_f64 v[32:33], v[32:33], v[40:41], v[66:67]
	s_mov_b32 vcc_lo, s44
	s_waitcnt vmcnt(0)
	v_fma_f64 v[14:15], v[36:37], vcc, v[2:3]
	v_div_fixup_f64 v[90:91], v[32:33], v[84:85], 1.0
	v_fma_f64 v[14:15], v[74:75], s[40:41], v[14:15]
	v_mul_f64 v[6:7], v[90:91], -v[6:7]
	v_mul_f64 v[66:67], v[38:39], v[6:7]
	v_fma_f64 v[78:79], v[66:67], s[38:39], v[14:15]
	v_cmp_ngt_f64_e64 s1, 0x41d00000, |v[78:79]|
	v_trig_preop_f64 v[34:35], |v[78:79]|, 0
	v_trig_preop_f64 v[32:33], |v[78:79]|, 1
	v_ldexp_f64 v[40:41], |v[78:79]|, 0xffffff80
	v_trig_preop_f64 v[28:29], |v[78:79]|, 2
	v_and_b32_e32 v45, 0x7fffffff, v79
	s_and_saveexec_b32 s2, s1
	s_xor_b32 s28, exec_lo, s2
	s_cbranch_execz .LBB0_108
; %bb.107:                              ;   in Loop: Header=BB0_90 Depth=2
	v_cmp_le_f64_e64 vcc_lo, 0x7b000000, |v[78:79]|
	s_mov_b32 s2, s56
	s_mov_b32 s91, s89
	v_cndmask_b32_e32 v7, v45, v41, vcc_lo
	v_cndmask_b32_e32 v6, v78, v40, vcc_lo
	v_mul_f64 v[43:44], v[34:35], v[6:7]
	v_mul_f64 v[14:15], v[32:33], v[6:7]
	v_fma_f64 v[98:99], v[34:35], v[6:7], -v[43:44]
	v_add_f64 v[100:101], v[14:15], v[98:99]
	v_add_f64 v[108:109], v[100:101], -v[14:15]
	v_add_f64 v[102:103], v[43:44], v[100:101]
	v_add_f64 v[98:99], v[98:99], -v[108:109]
	v_add_f64 v[108:109], v[100:101], -v[108:109]
	v_ldexp_f64 v[104:105], v[102:103], -2
	v_add_f64 v[43:44], v[102:103], -v[43:44]
	v_add_f64 v[108:109], v[14:15], -v[108:109]
	v_fma_f64 v[14:15], v[32:33], v[6:7], -v[14:15]
	v_add_f64 v[43:44], v[100:101], -v[43:44]
	v_fract_f64_e32 v[106:107], v[104:105]
	v_cmp_neq_f64_e64 vcc_lo, 0x7ff00000, |v[104:105]|
	v_add_f64 v[98:99], v[98:99], v[108:109]
	v_mul_f64 v[108:109], v[28:29], v[6:7]
	v_add_f64 v[110:111], v[108:109], v[14:15]
	v_fma_f64 v[6:7], v[28:29], v[6:7], -v[108:109]
	v_add_f64 v[112:113], v[110:111], v[98:99]
	v_add_f64 v[102:103], v[112:113], -v[110:111]
	v_add_f64 v[100:101], v[43:44], v[112:113]
	v_add_f64 v[98:99], v[98:99], -v[102:103]
	v_add_f64 v[102:103], v[112:113], -v[102:103]
	;; [unrolled: 1-line block ×5, first 2 shown]
	v_add_f64 v[98:99], v[98:99], v[102:103]
	v_add_f64 v[102:103], v[110:111], -v[108:109]
	v_add_f64 v[14:15], v[14:15], -v[102:103]
	;; [unrolled: 1-line block ×4, first 2 shown]
	v_add_f64 v[14:15], v[14:15], v[102:103]
	v_add_f64 v[14:15], v[14:15], v[98:99]
	;; [unrolled: 1-line block ×3, first 2 shown]
	v_ldexp_f64 v[14:15], v[106:107], 2
	v_add_f64 v[6:7], v[43:44], v[6:7]
	v_cndmask_b32_e32 v15, 0, v15, vcc_lo
	v_cndmask_b32_e32 v14, 0, v14, vcc_lo
	v_add_f64 v[43:44], v[100:101], v[14:15]
	v_cmp_gt_f64_e32 vcc_lo, 0, v[43:44]
	v_cndmask_b32_e64 v27, 0, 0x40100000, vcc_lo
	v_add_f64 v[14:15], v[14:15], v[26:27]
	v_add_f64 v[43:44], v[100:101], v[14:15]
	v_cvt_i32_f64_e32 v2, v[43:44]
	v_cvt_f64_i32_e32 v[43:44], v2
	v_add_f64 v[14:15], v[14:15], -v[43:44]
	v_add_f64 v[98:99], v[100:101], v[14:15]
	v_add_f64 v[14:15], v[98:99], -v[14:15]
	v_cmp_le_f64_e32 vcc_lo, 0.5, v[98:99]
	v_add_f64 v[14:15], v[100:101], -v[14:15]
	v_cndmask_b32_e64 v27, 0, 0x3ff00000, vcc_lo
	v_add_co_ci_u32_e64 v43, null, 0, v2, vcc_lo
	v_add_f64 v[6:7], v[6:7], v[14:15]
	v_add_f64 v[14:15], v[98:99], -v[26:27]
	v_add_f64 v[98:99], v[14:15], v[6:7]
	v_add_f64 v[14:15], v[98:99], -v[14:15]
	v_add_f64 v[6:7], v[6:7], -v[14:15]
	v_mul_f64 v[14:15], v[98:99], s[2:3]
	v_fma_f64 v[100:101], v[98:99], s[2:3], -v[14:15]
	v_fma_f64 v[98:99], v[98:99], s[90:91], v[100:101]
	v_fma_f64 v[6:7], v[6:7], s[2:3], v[98:99]
	v_add_f64 v[109:110], v[14:15], v[6:7]
	v_add_f64 v[14:15], v[109:110], -v[14:15]
	v_add_f64 v[111:112], v[6:7], -v[14:15]
	s_andn2_saveexec_b32 s2, s28
	s_cbranch_execz .LBB0_110
	s_branch .LBB0_109
.LBB0_108:                              ;   in Loop: Header=BB0_90 Depth=2
	s_andn2_saveexec_b32 s2, s28
	s_cbranch_execz .LBB0_110
.LBB0_109:                              ;   in Loop: Header=BB0_90 Depth=2
	v_mul_f64 v[6:7], |v[78:79]|, s[92:93]
	s_mov_b32 s88, s94
	v_rndne_f64_e32 v[6:7], v[6:7]
	v_fma_f64 v[14:15], v[6:7], s[56:57], |v[78:79]|
	v_mul_f64 v[43:44], v[6:7], s[94:95]
	v_fma_f64 v[100:101], v[6:7], s[94:95], v[14:15]
	v_add_f64 v[98:99], v[14:15], v[43:44]
	v_add_f64 v[14:15], v[14:15], -v[98:99]
	v_add_f64 v[98:99], v[98:99], -v[100:101]
	v_add_f64 v[14:15], v[14:15], v[43:44]
	v_fma_f64 v[43:44], v[6:7], s[88:89], v[43:44]
	v_add_f64 v[14:15], v[98:99], v[14:15]
	v_add_f64 v[14:15], v[14:15], -v[43:44]
	v_fma_f64 v[14:15], v[6:7], s[96:97], v[14:15]
	v_add_f64 v[109:110], v[100:101], v[14:15]
	v_add_f64 v[43:44], v[109:110], -v[100:101]
	v_add_f64 v[111:112], v[14:15], -v[43:44]
	v_cvt_i32_f64_e32 v43, v[6:7]
.LBB0_110:                              ;   in Loop: Header=BB0_90 Depth=2
	s_or_b32 exec_lo, exec_lo, s2
                                        ; implicit-def: $vgpr44
                                        ; implicit-def: $vgpr6_vgpr7
                                        ; implicit-def: $vgpr14_vgpr15
	s_and_saveexec_b32 s2, s1
	s_xor_b32 s1, exec_lo, s2
	s_cbranch_execz .LBB0_112
; %bb.111:                              ;   in Loop: Header=BB0_90 Depth=2
	v_cmp_le_f64_e64 vcc_lo, 0x7b000000, |v[78:79]|
	s_mov_b32 s2, s56
	s_mov_b32 s91, s89
	v_cndmask_b32_e32 v7, v45, v41, vcc_lo
	v_cndmask_b32_e32 v6, v78, v40, vcc_lo
	v_mul_f64 v[40:41], v[34:35], v[6:7]
	v_mul_f64 v[14:15], v[32:33], v[6:7]
	v_fma_f64 v[34:35], v[34:35], v[6:7], -v[40:41]
	v_add_f64 v[44:45], v[14:15], v[34:35]
	v_add_f64 v[104:105], v[44:45], -v[14:15]
	v_add_f64 v[98:99], v[40:41], v[44:45]
	v_add_f64 v[34:35], v[34:35], -v[104:105]
	v_add_f64 v[104:105], v[44:45], -v[104:105]
	v_ldexp_f64 v[100:101], v[98:99], -2
	v_add_f64 v[40:41], v[98:99], -v[40:41]
	v_add_f64 v[104:105], v[14:15], -v[104:105]
	v_fma_f64 v[14:15], v[32:33], v[6:7], -v[14:15]
	v_mul_f64 v[32:33], v[28:29], v[6:7]
	v_fract_f64_e32 v[102:103], v[100:101]
	v_add_f64 v[40:41], v[44:45], -v[40:41]
	v_cmp_neq_f64_e64 vcc_lo, 0x7ff00000, |v[100:101]|
	v_add_f64 v[34:35], v[34:35], v[104:105]
	v_add_f64 v[104:105], v[32:33], v[14:15]
	v_fma_f64 v[6:7], v[28:29], v[6:7], -v[32:33]
	v_add_f64 v[106:107], v[104:105], v[34:35]
	v_add_f64 v[98:99], v[106:107], -v[104:105]
	v_add_f64 v[44:45], v[40:41], v[106:107]
	v_add_f64 v[34:35], v[34:35], -v[98:99]
	v_add_f64 v[98:99], v[106:107], -v[98:99]
	v_add_f64 v[40:41], v[44:45], -v[40:41]
	v_add_f64 v[98:99], v[104:105], -v[98:99]
	v_add_f64 v[40:41], v[106:107], -v[40:41]
	v_add_f64 v[34:35], v[34:35], v[98:99]
	v_add_f64 v[98:99], v[104:105], -v[32:33]
	v_add_f64 v[14:15], v[14:15], -v[98:99]
	;; [unrolled: 1-line block ×4, first 2 shown]
	v_add_f64 v[14:15], v[14:15], v[98:99]
	v_add_f64 v[14:15], v[14:15], v[34:35]
	;; [unrolled: 1-line block ×3, first 2 shown]
	v_ldexp_f64 v[14:15], v[102:103], 2
	v_add_f64 v[6:7], v[40:41], v[6:7]
	v_cndmask_b32_e32 v15, 0, v15, vcc_lo
	v_cndmask_b32_e32 v14, 0, v14, vcc_lo
	v_add_f64 v[27:28], v[44:45], v[14:15]
	v_cmp_gt_f64_e32 vcc_lo, 0, v[27:28]
	v_cndmask_b32_e64 v27, 0, 0x40100000, vcc_lo
	v_add_f64 v[14:15], v[14:15], v[26:27]
	v_add_f64 v[27:28], v[44:45], v[14:15]
	v_cvt_i32_f64_e32 v2, v[27:28]
	v_cvt_f64_i32_e32 v[27:28], v2
	v_add_f64 v[14:15], v[14:15], -v[27:28]
	v_add_f64 v[28:29], v[44:45], v[14:15]
	v_add_f64 v[14:15], v[28:29], -v[14:15]
	v_cmp_le_f64_e32 vcc_lo, 0.5, v[28:29]
	v_add_f64 v[14:15], v[44:45], -v[14:15]
	v_cndmask_b32_e64 v27, 0, 0x3ff00000, vcc_lo
	v_add_co_ci_u32_e64 v44, null, 0, v2, vcc_lo
	v_add_f64 v[6:7], v[6:7], v[14:15]
	v_add_f64 v[14:15], v[28:29], -v[26:27]
	v_add_f64 v[27:28], v[14:15], v[6:7]
	v_add_f64 v[14:15], v[27:28], -v[14:15]
	v_add_f64 v[6:7], v[6:7], -v[14:15]
	v_mul_f64 v[14:15], v[27:28], s[2:3]
	v_fma_f64 v[32:33], v[27:28], s[2:3], -v[14:15]
	v_fma_f64 v[27:28], v[27:28], s[90:91], v[32:33]
	v_fma_f64 v[27:28], v[6:7], s[2:3], v[27:28]
	v_add_f64 v[6:7], v[14:15], v[27:28]
	v_add_f64 v[14:15], v[6:7], -v[14:15]
	v_add_f64 v[14:15], v[27:28], -v[14:15]
	s_andn2_saveexec_b32 s1, s1
	s_cbranch_execnz .LBB0_113
	s_branch .LBB0_114
.LBB0_112:                              ;   in Loop: Header=BB0_90 Depth=2
	s_andn2_saveexec_b32 s1, s1
	s_cbranch_execz .LBB0_114
.LBB0_113:                              ;   in Loop: Header=BB0_90 Depth=2
	v_mul_f64 v[6:7], |v[78:79]|, s[92:93]
	s_mov_b32 s88, s94
	v_rndne_f64_e32 v[27:28], v[6:7]
	v_fma_f64 v[6:7], v[27:28], s[56:57], |v[78:79]|
	v_mul_f64 v[14:15], v[27:28], s[94:95]
	v_cvt_i32_f64_e32 v44, v[27:28]
	v_fma_f64 v[34:35], v[27:28], s[94:95], v[6:7]
	v_add_f64 v[32:33], v[6:7], v[14:15]
	v_add_f64 v[6:7], v[6:7], -v[32:33]
	v_add_f64 v[32:33], v[32:33], -v[34:35]
	v_add_f64 v[6:7], v[6:7], v[14:15]
	v_fma_f64 v[14:15], v[27:28], s[88:89], v[14:15]
	v_add_f64 v[6:7], v[32:33], v[6:7]
	v_add_f64 v[6:7], v[6:7], -v[14:15]
	v_fma_f64 v[14:15], v[27:28], s[96:97], v[6:7]
	v_add_f64 v[6:7], v[34:35], v[14:15]
	v_add_f64 v[32:33], v[6:7], -v[34:35]
	v_add_f64 v[14:15], v[14:15], -v[32:33]
.LBB0_114:                              ;   in Loop: Header=BB0_90 Depth=2
	s_or_b32 exec_lo, exec_lo, s1
	s_clause 0x1
	buffer_load_dword v2, off, s[100:103], 0
	buffer_load_dword v3, off, s[100:103], 0 offset:4
	v_mul_f64 v[12:13], v[12:13], v[92:93]
	s_mov_b32 vcc_lo, s44
	v_add_f64 v[27:28], v[69:70], v[69:70]
	v_fma_f64 v[32:33], v[62:63], vcc, v[54:55]
	v_fma_f64 v[98:99], v[60:61], vcc, v[56:57]
	v_add_f64 v[69:70], v[69:70], -1.0
	v_add_f64 v[86:87], v[8:9], v[86:87]
	v_fma_f64 v[40:41], v[64:65], s[44:45], v[52:53]
	s_mov_b32 s28, s16
	s_mov_b32 s40, s42
	;; [unrolled: 1-line block ×3, first 2 shown]
	v_lshlrev_b32_e32 v4, 30, v44
	s_mov_b32 s48, s50
	v_and_b32_e32 v4, 0x80000000, v4
	v_div_scale_f64 v[92:93], null, v[12:13], v[12:13], 1.0
	v_rcp_f64_e32 v[100:101], v[92:93]
	v_fma_f64 v[102:103], -v[92:93], v[100:101], 1.0
	v_fma_f64 v[100:101], v[100:101], v[102:103], v[100:101]
	v_fma_f64 v[102:103], -v[92:93], v[100:101], 1.0
	v_fma_f64 v[100:101], v[100:101], v[102:103], v[100:101]
	v_div_scale_f64 v[102:103], vcc_lo, 1.0, v[12:13], 1.0
	v_mul_f64 v[104:105], v[102:103], v[100:101]
	v_fma_f64 v[92:93], -v[92:93], v[104:105], v[102:103]
	v_div_fmas_f64 v[92:93], v[92:93], v[100:101], v[104:105]
                                        ; implicit-def: $vgpr101_vgpr102
                                        ; implicit-def: $vgpr103_vgpr104
	v_div_fixup_f64 v[12:13], v[92:93], v[12:13], 1.0
	s_waitcnt vmcnt(0)
	v_fma_f64 v[34:35], v[36:37], s[46:47], v[2:3]
	s_clause 0x1
	buffer_load_dword v2, off, s[100:103], 0 offset:8
	buffer_load_dword v3, off, s[100:103], 0 offset:12
	s_waitcnt vmcnt(0)
	v_mul_f64 v[92:93], v[2:3], v[69:70]
	s_clause 0x1
	buffer_load_dword v2, off, s[100:103], 0 offset:16
	buffer_load_dword v3, off, s[100:103], 0 offset:20
	v_fma_f64 v[27:28], v[27:28], v[86:87], -v[92:93]
	v_add_f64 v[86:87], v[0:1], v[0:1]
	v_mul_f64 v[0:1], v[0:1], v[86:87]
	v_mul_f64 v[0:1], v[69:70], v[0:1]
	v_mul_f64 v[69:70], v[96:97], 0.5
	v_mul_f64 v[0:1], v[0:1], v[71:72]
	s_waitcnt vmcnt(0)
	v_add_f64 v[27:28], v[27:28], -v[2:3]
	v_lshlrev_b32_e32 v2, 30, v42
	v_and_b32_e32 v3, 1, v44
	v_xor_b32_e32 v2, v2, v68
	v_and_b32_e32 v2, 0x80000000, v2
	v_fma_f64 v[0:1], v[27:28], v[12:13], -v[0:1]
	v_fma_f64 v[27:28], 0x40040000, v[74:75], v[34:35]
	v_fma_f64 v[12:13], v[76:77], s[40:41], v[32:33]
	;; [unrolled: 1-line block ×3, first 2 shown]
	v_mul_f64 v[86:87], v[38:39], -v[0:1]
	v_and_b32_e32 v0, 1, v42
                                        ; implicit-def: $vgpr42
	v_cmp_eq_u32_e32 vcc_lo, 0, v0
	v_mul_f64 v[0:1], v[94:95], v[94:95]
	v_fma_f64 v[113:114], v[86:87], s[42:43], v[40:41]
	v_fma_f64 v[40:41], v[0:1], s[20:21], s[18:19]
	v_mul_f64 v[34:35], v[94:95], -v[0:1]
	v_fma_f64 v[92:93], v[0:1], s[6:7], s[4:5]
	v_mul_f64 v[71:72], v[0:1], v[0:1]
	v_fma_f64 v[40:41], v[0:1], v[40:41], s[22:23]
	v_fma_f64 v[92:93], v[0:1], v[92:93], s[10:11]
	;; [unrolled: 1-line block ×7, first 2 shown]
	v_fma_f64 v[40:41], v[0:1], v[40:41], -v[96:97]
	v_fma_f64 v[34:35], v[34:35], s[28:29], v[40:41]
	v_mul_f64 v[40:41], v[0:1], 0.5
	v_fma_f64 v[0:1], v[0:1], v[92:93], s[16:17]
	v_add_f64 v[34:35], v[94:95], -v[34:35]
	v_add_f64 v[69:70], -v[40:41], 1.0
	v_add_f64 v[92:93], -v[69:70], 1.0
	v_add_f64 v[40:41], v[92:93], -v[40:41]
	v_fma_f64 v[40:41], v[94:95], -v[96:97], v[40:41]
	v_fma_f64 v[0:1], v[71:72], v[0:1], v[40:41]
	v_add_f64 v[0:1], v[69:70], v[0:1]
	v_cndmask_b32_e32 v1, v1, v35, vcc_lo
	v_cndmask_b32_e32 v0, v0, v34, vcc_lo
	v_xor_b32_e32 v1, v1, v2
	v_cndmask_b32_e64 v34, 0, v0, s0
	v_cndmask_b32_e64 v35, 0x7ff80000, v1, s0
	v_cmp_class_f64_e64 s0, v[78:79], 0x1f8
	v_mul_f64 v[0:1], v[34:35], v[34:35]
	v_cmp_gt_f64_e32 vcc_lo, s[98:99], v[34:35]
	v_cndmask_b32_e64 v93, v1, 0x3c9cd2b2, vcc_lo
	v_cndmask_b32_e64 v92, v0, 0x97d889bc, vcc_lo
	;; [unrolled: 1-line block ×4, first 2 shown]
	v_fma_f64 v[0:1], v[82:83], -2.0, v[88:89]
	v_mul_f64 v[10:11], -v[34:35], v[10:11]
	v_mul_f64 v[34:35], v[92:93], v[92:93]
	v_add_f64 v[0:1], v[8:9], v[0:1]
	v_div_scale_f64 v[68:69], null, v[34:35], v[34:35], v[58:59]
	v_mul_f64 v[40:41], v[0:1], -v[113:114]
	v_rcp_f64_e32 v[70:71], v[68:69]
	v_mul_f64 v[40:41], v[40:41], v[90:91]
	v_fma_f64 v[72:73], -v[68:69], v[70:71], 1.0
	v_fma_f64 v[70:71], v[70:71], v[72:73], v[70:71]
	v_fma_f64 v[72:73], -v[68:69], v[70:71], 1.0
	v_fma_f64 v[70:71], v[70:71], v[72:73], v[70:71]
	v_div_scale_f64 v[72:73], vcc_lo, v[58:59], v[34:35], v[58:59]
	v_mul_f64 v[94:95], v[72:73], v[70:71]
	v_fma_f64 v[68:69], -v[68:69], v[94:95], v[72:73]
	v_div_fmas_f64 v[68:69], v[68:69], v[70:71], v[94:95]
	v_mul_f64 v[70:71], v[38:39], v[40:41]
	v_cmp_eq_u32_e32 vcc_lo, 0, v3
	v_div_fixup_f64 v[34:35], v[68:69], v[34:35], v[58:59]
	v_fma_f64 v[94:95], v[70:71], s[38:39], v[12:13]
	v_fma_f64 v[12:13], v[66:67], s[50:51], v[27:28]
	v_add_f64 v[34:35], v[34:35], -v[8:9]
	v_mul_f64 v[96:97], v[94:95], v[94:95]
	v_mul_f64 v[10:11], v[34:35], v[10:11]
	;; [unrolled: 1-line block ×4, first 2 shown]
	v_fma_f64 v[27:28], v[68:69], s[38:39], v[32:33]
	v_mul_f64 v[32:33], v[6:7], v[6:7]
	v_mul_f64 v[10:11], v[32:33], 0.5
	v_fma_f64 v[72:73], v[32:33], s[6:7], s[4:5]
	v_add_f64 v[34:35], -v[10:11], 1.0
	v_fma_f64 v[72:73], v[32:33], v[72:73], s[10:11]
	v_add_f64 v[40:41], -v[34:35], 1.0
	v_fma_f64 v[72:73], v[32:33], v[72:73], s[12:13]
	v_add_f64 v[10:11], v[40:41], -v[10:11]
	v_fma_f64 v[72:73], v[32:33], v[72:73], s[14:15]
	v_mul_f64 v[40:41], v[32:33], v[32:33]
	v_fma_f64 v[10:11], v[6:7], -v[14:15], v[10:11]
	v_fma_f64 v[72:73], v[32:33], v[72:73], s[16:17]
	v_fma_f64 v[10:11], v[40:41], v[72:73], v[10:11]
	v_mul_f64 v[40:41], v[6:7], -v[32:33]
	v_mul_f64 v[72:73], v[14:15], 0.5
	v_add_f64 v[10:11], v[34:35], v[10:11]
	v_fma_f64 v[34:35], v[32:33], s[20:21], s[18:19]
	v_fma_f64 v[34:35], v[32:33], v[34:35], s[22:23]
	;; [unrolled: 1-line block ×5, first 2 shown]
	v_fma_f64 v[14:15], v[32:33], v[34:35], -v[14:15]
	v_fma_f64 v[14:15], v[40:41], s[28:29], v[14:15]
	v_add_f64 v[6:7], v[6:7], -v[14:15]
	v_xor_b32_e32 v2, 0x80000000, v7
	v_cndmask_b32_e32 v3, v6, v10, vcc_lo
	v_cndmask_b32_e32 v2, v2, v11, vcc_lo
	v_cndmask_b32_e64 v10, 0, v3, s0
	v_xor_b32_e32 v2, v2, v4
	v_cndmask_b32_e64 v11, 0x7ff80000, v2, s0
	v_mul_f64 v[6:7], v[10:11], v[10:11]
	v_fma_f64 v[105:106], v[8:9], v[6:7], v[96:97]
	v_div_scale_f64 v[6:7], null, v[105:106], v[105:106], 1.0
	v_rcp_f64_e32 v[14:15], v[6:7]
	v_fma_f64 v[32:33], -v[6:7], v[14:15], 1.0
	v_fma_f64 v[14:15], v[14:15], v[32:33], v[14:15]
	v_fma_f64 v[32:33], -v[6:7], v[14:15], 1.0
	v_fma_f64 v[14:15], v[14:15], v[32:33], v[14:15]
	v_div_scale_f64 v[32:33], vcc_lo, 1.0, v[105:106], 1.0
	v_mul_f64 v[34:35], v[32:33], v[14:15]
	v_fma_f64 v[6:7], -v[6:7], v[34:35], v[32:33]
	v_div_fmas_f64 v[6:7], v[6:7], v[14:15], v[34:35]
	v_div_fixup_f64 v[107:108], v[6:7], v[105:106], 1.0
	v_mul_f64 v[6:7], v[107:108], -v[27:28]
	v_mul_f64 v[72:73], v[38:39], v[6:7]
	v_fma_f64 v[99:100], v[72:73], s[48:49], v[12:13]
	v_cmp_ngt_f64_e64 s1, 0x41d00000, |v[99:100]|
	v_trig_preop_f64 v[32:33], |v[99:100]|, 0
	v_trig_preop_f64 v[28:29], |v[99:100]|, 1
	v_ldexp_f64 v[34:35], |v[99:100]|, 0xffffff80
	v_trig_preop_f64 v[6:7], |v[99:100]|, 2
	v_and_b32_e32 v41, 0x7fffffff, v100
	s_and_saveexec_b32 s2, s1
	s_xor_b32 s28, exec_lo, s2
	s_cbranch_execz .LBB0_116
; %bb.115:                              ;   in Loop: Header=BB0_90 Depth=2
	v_cmp_le_f64_e64 vcc_lo, 0x7b000000, |v[99:100]|
	s_mov_b32 s2, s56
	s_mov_b32 s91, s89
	v_cndmask_b32_e32 v13, v41, v35, vcc_lo
	v_cndmask_b32_e32 v12, v99, v34, vcc_lo
	v_mul_f64 v[44:45], v[32:33], v[12:13]
	v_mul_f64 v[14:15], v[28:29], v[12:13]
	v_fma_f64 v[101:102], v[32:33], v[12:13], -v[44:45]
	v_add_f64 v[103:104], v[14:15], v[101:102]
	v_add_f64 v[121:122], v[103:104], -v[14:15]
	v_add_f64 v[115:116], v[44:45], v[103:104]
	v_add_f64 v[101:102], v[101:102], -v[121:122]
	v_add_f64 v[121:122], v[103:104], -v[121:122]
	v_ldexp_f64 v[117:118], v[115:116], -2
	v_add_f64 v[44:45], v[115:116], -v[44:45]
	v_add_f64 v[121:122], v[14:15], -v[121:122]
	v_fma_f64 v[14:15], v[28:29], v[12:13], -v[14:15]
	v_add_f64 v[44:45], v[103:104], -v[44:45]
	v_fract_f64_e32 v[119:120], v[117:118]
	v_cmp_neq_f64_e64 vcc_lo, 0x7ff00000, |v[117:118]|
	v_add_f64 v[101:102], v[101:102], v[121:122]
	v_mul_f64 v[121:122], v[6:7], v[12:13]
	v_add_f64 v[123:124], v[121:122], v[14:15]
	v_fma_f64 v[12:13], v[6:7], v[12:13], -v[121:122]
	v_add_f64 v[125:126], v[123:124], v[101:102]
	v_add_f64 v[115:116], v[125:126], -v[123:124]
	v_add_f64 v[103:104], v[44:45], v[125:126]
	v_add_f64 v[101:102], v[101:102], -v[115:116]
	v_add_f64 v[115:116], v[125:126], -v[115:116]
	;; [unrolled: 1-line block ×5, first 2 shown]
	v_add_f64 v[101:102], v[101:102], v[115:116]
	v_add_f64 v[115:116], v[123:124], -v[121:122]
	v_add_f64 v[14:15], v[14:15], -v[115:116]
	;; [unrolled: 1-line block ×4, first 2 shown]
	v_add_f64 v[14:15], v[14:15], v[115:116]
	v_add_f64 v[14:15], v[14:15], v[101:102]
	;; [unrolled: 1-line block ×3, first 2 shown]
	v_ldexp_f64 v[14:15], v[119:120], 2
	v_add_f64 v[12:13], v[44:45], v[12:13]
	v_cndmask_b32_e32 v15, 0, v15, vcc_lo
	v_cndmask_b32_e32 v14, 0, v14, vcc_lo
	v_add_f64 v[44:45], v[103:104], v[14:15]
	v_cmp_gt_f64_e32 vcc_lo, 0, v[44:45]
	v_cndmask_b32_e64 v27, 0, 0x40100000, vcc_lo
	v_add_f64 v[14:15], v[14:15], v[26:27]
	v_add_f64 v[44:45], v[103:104], v[14:15]
	v_cvt_i32_f64_e32 v2, v[44:45]
	v_cvt_f64_i32_e32 v[44:45], v2
	v_add_f64 v[14:15], v[14:15], -v[44:45]
	v_add_f64 v[44:45], v[103:104], v[14:15]
	v_add_f64 v[14:15], v[44:45], -v[14:15]
	v_cmp_le_f64_e32 vcc_lo, 0.5, v[44:45]
	v_add_f64 v[14:15], v[103:104], -v[14:15]
	v_cndmask_b32_e64 v27, 0, 0x3ff00000, vcc_lo
	v_add_co_ci_u32_e64 v42, null, 0, v2, vcc_lo
	v_add_f64 v[12:13], v[12:13], v[14:15]
	v_add_f64 v[14:15], v[44:45], -v[26:27]
	v_add_f64 v[44:45], v[14:15], v[12:13]
	v_add_f64 v[14:15], v[44:45], -v[14:15]
	v_add_f64 v[12:13], v[12:13], -v[14:15]
	v_mul_f64 v[14:15], v[44:45], s[2:3]
	v_fma_f64 v[101:102], v[44:45], s[2:3], -v[14:15]
	v_fma_f64 v[44:45], v[44:45], s[90:91], v[101:102]
	v_fma_f64 v[12:13], v[12:13], s[2:3], v[44:45]
	v_add_f64 v[101:102], v[14:15], v[12:13]
	v_add_f64 v[14:15], v[101:102], -v[14:15]
	v_add_f64 v[103:104], v[12:13], -v[14:15]
	s_andn2_saveexec_b32 s2, s28
	s_cbranch_execz .LBB0_118
	s_branch .LBB0_117
.LBB0_116:                              ;   in Loop: Header=BB0_90 Depth=2
	s_andn2_saveexec_b32 s2, s28
	s_cbranch_execz .LBB0_118
.LBB0_117:                              ;   in Loop: Header=BB0_90 Depth=2
	v_mul_f64 v[12:13], |v[99:100]|, s[92:93]
	s_mov_b32 s88, s94
	v_rndne_f64_e32 v[12:13], v[12:13]
	v_fma_f64 v[14:15], v[12:13], s[56:57], |v[99:100]|
	v_mul_f64 v[44:45], v[12:13], s[94:95]
	v_cvt_i32_f64_e32 v42, v[12:13]
	v_fma_f64 v[103:104], v[12:13], s[94:95], v[14:15]
	v_add_f64 v[101:102], v[14:15], v[44:45]
	v_add_f64 v[14:15], v[14:15], -v[101:102]
	v_add_f64 v[101:102], v[101:102], -v[103:104]
	v_add_f64 v[14:15], v[14:15], v[44:45]
	v_fma_f64 v[44:45], v[12:13], s[88:89], v[44:45]
	v_add_f64 v[14:15], v[101:102], v[14:15]
	v_add_f64 v[14:15], v[14:15], -v[44:45]
	v_fma_f64 v[14:15], v[12:13], s[96:97], v[14:15]
	v_add_f64 v[101:102], v[103:104], v[14:15]
	v_add_f64 v[44:45], v[101:102], -v[103:104]
	v_add_f64 v[103:104], v[14:15], -v[44:45]
.LBB0_118:                              ;   in Loop: Header=BB0_90 Depth=2
	s_or_b32 exec_lo, exec_lo, s2
                                        ; implicit-def: $vgpr40
                                        ; implicit-def: $vgpr12_vgpr13
                                        ; implicit-def: $vgpr14_vgpr15
	s_and_saveexec_b32 s2, s1
	s_xor_b32 s1, exec_lo, s2
	s_cbranch_execz .LBB0_120
; %bb.119:                              ;   in Loop: Header=BB0_90 Depth=2
	v_cmp_le_f64_e64 vcc_lo, 0x7b000000, |v[99:100]|
	s_mov_b32 s2, s56
	s_mov_b32 s91, s89
	v_cndmask_b32_e32 v13, v41, v35, vcc_lo
	v_cndmask_b32_e32 v12, v99, v34, vcc_lo
	v_mul_f64 v[34:35], v[32:33], v[12:13]
	v_mul_f64 v[14:15], v[28:29], v[12:13]
	v_fma_f64 v[32:33], v[32:33], v[12:13], -v[34:35]
	v_add_f64 v[40:41], v[14:15], v[32:33]
	v_add_f64 v[119:120], v[40:41], -v[14:15]
	v_add_f64 v[44:45], v[34:35], v[40:41]
	v_add_f64 v[32:33], v[32:33], -v[119:120]
	v_add_f64 v[119:120], v[40:41], -v[119:120]
	v_ldexp_f64 v[115:116], v[44:45], -2
	v_add_f64 v[34:35], v[44:45], -v[34:35]
	v_add_f64 v[119:120], v[14:15], -v[119:120]
	v_fma_f64 v[14:15], v[28:29], v[12:13], -v[14:15]
	v_mul_f64 v[27:28], v[6:7], v[12:13]
	v_fract_f64_e32 v[117:118], v[115:116]
	v_add_f64 v[34:35], v[40:41], -v[34:35]
	v_cmp_neq_f64_e64 vcc_lo, 0x7ff00000, |v[115:116]|
	v_add_f64 v[32:33], v[32:33], v[119:120]
	v_add_f64 v[119:120], v[27:28], v[14:15]
	v_fma_f64 v[6:7], v[6:7], v[12:13], -v[27:28]
	v_ldexp_f64 v[12:13], v[117:118], 2
	v_add_f64 v[121:122], v[119:120], v[32:33]
	v_cndmask_b32_e32 v13, 0, v13, vcc_lo
	v_cndmask_b32_e32 v12, 0, v12, vcc_lo
	v_add_f64 v[44:45], v[121:122], -v[119:120]
	v_add_f64 v[40:41], v[34:35], v[121:122]
	v_add_f64 v[32:33], v[32:33], -v[44:45]
	v_add_f64 v[44:45], v[121:122], -v[44:45]
	;; [unrolled: 1-line block ×5, first 2 shown]
	v_add_f64 v[32:33], v[32:33], v[44:45]
	v_add_f64 v[44:45], v[119:120], -v[27:28]
	v_add_f64 v[14:15], v[14:15], -v[44:45]
	;; [unrolled: 1-line block ×4, first 2 shown]
	v_add_f64 v[14:15], v[14:15], v[44:45]
	v_add_f64 v[14:15], v[14:15], v[32:33]
	;; [unrolled: 1-line block ×5, first 2 shown]
	v_cmp_gt_f64_e32 vcc_lo, 0, v[14:15]
	v_cndmask_b32_e64 v27, 0, 0x40100000, vcc_lo
	v_add_f64 v[12:13], v[12:13], v[26:27]
	v_add_f64 v[14:15], v[40:41], v[12:13]
	v_cvt_i32_f64_e32 v2, v[14:15]
	v_cvt_f64_i32_e32 v[14:15], v2
	v_add_f64 v[12:13], v[12:13], -v[14:15]
	v_add_f64 v[14:15], v[40:41], v[12:13]
	v_add_f64 v[12:13], v[14:15], -v[12:13]
	v_cmp_le_f64_e32 vcc_lo, 0.5, v[14:15]
	v_add_f64 v[12:13], v[40:41], -v[12:13]
	v_cndmask_b32_e64 v27, 0, 0x3ff00000, vcc_lo
	v_add_co_ci_u32_e64 v40, null, 0, v2, vcc_lo
	v_add_f64 v[6:7], v[6:7], v[12:13]
	v_add_f64 v[12:13], v[14:15], -v[26:27]
	v_add_f64 v[14:15], v[12:13], v[6:7]
	v_add_f64 v[12:13], v[14:15], -v[12:13]
	v_mul_f64 v[27:28], v[14:15], s[2:3]
	v_add_f64 v[6:7], v[6:7], -v[12:13]
	v_fma_f64 v[12:13], v[14:15], s[2:3], -v[27:28]
	v_fma_f64 v[12:13], v[14:15], s[90:91], v[12:13]
	v_fma_f64 v[6:7], v[6:7], s[2:3], v[12:13]
	v_add_f64 v[12:13], v[27:28], v[6:7]
	v_add_f64 v[14:15], v[12:13], -v[27:28]
	v_add_f64 v[14:15], v[6:7], -v[14:15]
	s_andn2_saveexec_b32 s1, s1
	s_cbranch_execnz .LBB0_121
	s_branch .LBB0_122
.LBB0_120:                              ;   in Loop: Header=BB0_90 Depth=2
	s_andn2_saveexec_b32 s1, s1
	s_cbranch_execz .LBB0_122
.LBB0_121:                              ;   in Loop: Header=BB0_90 Depth=2
	v_mul_f64 v[6:7], |v[99:100]|, s[92:93]
	s_mov_b32 s88, s94
	v_rndne_f64_e32 v[6:7], v[6:7]
	v_fma_f64 v[12:13], v[6:7], s[56:57], |v[99:100]|
	v_mul_f64 v[14:15], v[6:7], s[94:95]
	v_cvt_i32_f64_e32 v40, v[6:7]
	v_fma_f64 v[32:33], v[6:7], s[94:95], v[12:13]
	v_add_f64 v[27:28], v[12:13], v[14:15]
	v_add_f64 v[12:13], v[12:13], -v[27:28]
	v_add_f64 v[27:28], v[27:28], -v[32:33]
	v_add_f64 v[12:13], v[12:13], v[14:15]
	v_fma_f64 v[14:15], v[6:7], s[88:89], v[14:15]
	v_add_f64 v[12:13], v[27:28], v[12:13]
	v_add_f64 v[12:13], v[12:13], -v[14:15]
	v_fma_f64 v[14:15], v[6:7], s[96:97], v[12:13]
	v_add_f64 v[12:13], v[32:33], v[14:15]
	v_add_f64 v[27:28], v[12:13], -v[32:33]
	v_add_f64 v[14:15], v[14:15], -v[27:28]
.LBB0_122:                              ;   in Loop: Header=BB0_90 Depth=2
	s_or_b32 exec_lo, exec_lo, s1
	s_clause 0x1
	buffer_load_dword v2, off, s[100:103], 0
	buffer_load_dword v3, off, s[100:103], 0 offset:4
	v_mul_f64 v[0:1], v[0:1], v[84:85]
	s_mov_b32 vcc_lo, s44
	v_add_f64 v[115:116], v[82:83], v[82:83]
	v_fma_f64 v[32:33], v[64:65], vcc, v[52:53]
	v_fma_f64 v[6:7], v[62:63], s[46:47], v[54:55]
	v_fma_f64 v[34:35], v[60:61], s[46:47], v[56:57]
	s_mov_b32 s40, s42
	s_mov_b32 s38, s44
	s_mov_b32 s28, s16
	v_lshlrev_b32_e32 v4, 30, v43
	s_mov_b32 s48, s50
                                        ; implicit-def: $vgpr123_vgpr124
                                        ; implicit-def: $vgpr125_vgpr126
	v_xor_b32_e32 v4, v4, v79
	v_and_b32_e32 v4, 0x80000000, v4
	v_div_scale_f64 v[44:45], null, v[0:1], v[0:1], 1.0
	v_fma_f64 v[32:33], v[86:87], s[40:41], v[32:33]
	v_fma_f64 v[6:7], 0x40040000, v[76:77], v[6:7]
	;; [unrolled: 1-line block ×3, first 2 shown]
	s_waitcnt vmcnt(0)
	v_fma_f64 v[27:28], v[36:37], s[58:59], v[2:3]
	s_clause 0x1
	buffer_load_dword v2, off, s[100:103], 0 offset:8
	buffer_load_dword v3, off, s[100:103], 0 offset:12
	v_fma_f64 v[27:28], 0x3fd5e000, v[74:75], v[27:28]
	v_rcp_f64_e32 v[74:75], v[44:45]
	v_fma_f64 v[27:28], v[66:67], s[60:61], v[27:28]
	v_fma_f64 v[117:118], -v[44:45], v[74:75], 1.0
	v_fma_f64 v[74:75], v[74:75], v[117:118], v[74:75]
	v_fma_f64 v[117:118], -v[44:45], v[74:75], 1.0
	v_fma_f64 v[74:75], v[74:75], v[117:118], v[74:75]
	v_div_scale_f64 v[117:118], vcc_lo, 1.0, v[0:1], 1.0
	v_mul_f64 v[119:120], v[117:118], v[74:75]
	v_fma_f64 v[44:45], -v[44:45], v[119:120], v[117:118]
	v_div_fmas_f64 v[44:45], v[44:45], v[74:75], v[119:120]
	v_add_f64 v[74:75], v[113:114], v[113:114]
	v_div_fixup_f64 v[117:118], v[44:45], v[0:1], 1.0
	v_add_f64 v[0:1], v[8:9], v[88:89]
	v_mul_f64 v[74:75], v[113:114], v[74:75]
	v_mul_f64 v[119:120], v[115:116], v[0:1]
	v_add_f64 v[0:1], v[82:83], -1.0
	v_mul_f64 v[82:83], v[111:112], 0.5
	s_waitcnt vmcnt(0)
	v_fma_f64 v[44:45], -v[2:3], v[0:1], v[119:120]
	s_clause 0x1
	buffer_load_dword v2, off, s[100:103], 0 offset:16
	buffer_load_dword v3, off, s[100:103], 0 offset:20
	v_mul_f64 v[0:1], v[0:1], v[74:75]
	v_mul_f64 v[0:1], v[0:1], v[90:91]
	s_waitcnt vmcnt(0)
	v_add_f64 v[44:45], v[44:45], -v[2:3]
	v_and_b32_e32 v2, 1, v43
	v_cmp_eq_u32_e32 vcc_lo, 0, v2
	v_fma_f64 v[44:45], v[44:45], v[117:118], -v[0:1]
	v_fma_f64 v[0:1], v[70:71], s[50:51], v[6:7]
	v_mul_f64 v[6:7], v[109:110], v[109:110]
	v_mul_f64 v[74:75], v[38:39], -v[44:45]
	v_fma_f64 v[44:45], v[6:7], s[20:21], s[18:19]
	v_fma_f64 v[90:91], v[6:7], s[6:7], s[4:5]
	v_mul_f64 v[88:89], v[6:7], v[6:7]
	v_fma_f64 v[113:114], v[74:75], s[38:39], v[32:33]
	v_fma_f64 v[32:33], v[68:69], s[50:51], v[34:35]
	;; [unrolled: 1-line block ×3, first 2 shown]
	v_mul_f64 v[34:35], v[109:110], -v[6:7]
	v_fma_f64 v[90:91], v[6:7], v[90:91], s[10:11]
	v_fma_f64 v[44:45], v[6:7], v[44:45], s[24:25]
	;; [unrolled: 1-line block ×6, first 2 shown]
	v_fma_f64 v[44:45], v[6:7], v[44:45], -v[111:112]
	v_fma_f64 v[34:35], v[34:35], s[28:29], v[44:45]
	v_mul_f64 v[44:45], v[6:7], 0.5
	v_fma_f64 v[6:7], v[6:7], v[90:91], s[16:17]
	v_add_f64 v[34:35], v[109:110], -v[34:35]
	v_add_f64 v[82:83], -v[44:45], 1.0
	v_add_f64 v[90:91], -v[82:83], 1.0
	v_add_f64 v[44:45], v[90:91], -v[44:45]
	v_fma_f64 v[44:45], v[109:110], -v[111:112], v[44:45]
	v_fma_f64 v[6:7], v[88:89], v[6:7], v[44:45]
	v_add_f64 v[6:7], v[82:83], v[6:7]
	v_cndmask_b32_e32 v3, v7, v35, vcc_lo
	v_cndmask_b32_e32 v2, v6, v34, vcc_lo
	v_fma_f64 v[34:35], v[94:95], -2.0, v[96:97]
	v_xor_b32_e32 v3, v3, v4
	v_cndmask_b32_e64 v43, 0, v2, s0
	v_lshlrev_b32_e32 v4, 30, v40
	v_cndmask_b32_e64 v44, 0x7ff80000, v3, s0
	v_cmp_class_f64_e64 s0, v[99:100], 0x1f8
	v_and_b32_e32 v3, 1, v40
	v_and_b32_e32 v4, 0x80000000, v4
	v_mul_f64 v[6:7], v[43:44], v[43:44]
	v_cmp_gt_f64_e32 vcc_lo, s[98:99], v[43:44]
	v_add_f64 v[34:35], v[8:9], v[34:35]
	v_cndmask_b32_e64 v7, v7, 0x3c9cd2b2, vcc_lo
	v_cndmask_b32_e64 v6, v6, 0x97d889bc, vcc_lo
	;; [unrolled: 1-line block ×4, first 2 shown]
	v_mul_f64 v[10:11], -v[43:44], v[10:11]
	v_mul_f64 v[43:44], v[6:7], v[6:7]
	v_mul_f64 v[78:79], v[34:35], -v[113:114]
	v_div_scale_f64 v[82:83], null, v[43:44], v[43:44], v[58:59]
	v_mul_f64 v[78:79], v[78:79], v[107:108]
	v_rcp_f64_e32 v[88:89], v[82:83]
	v_fma_f64 v[90:91], -v[82:83], v[88:89], 1.0
	v_fma_f64 v[88:89], v[88:89], v[90:91], v[88:89]
	v_fma_f64 v[90:91], -v[82:83], v[88:89], 1.0
	v_fma_f64 v[88:89], v[88:89], v[90:91], v[88:89]
	v_div_scale_f64 v[90:91], vcc_lo, v[58:59], v[43:44], v[58:59]
	v_mul_f64 v[109:110], v[90:91], v[88:89]
	v_fma_f64 v[82:83], -v[82:83], v[109:110], v[90:91]
	v_div_fmas_f64 v[82:83], v[82:83], v[88:89], v[109:110]
	v_cmp_eq_u32_e32 vcc_lo, 0, v3
	v_div_fixup_f64 v[43:44], v[82:83], v[43:44], v[58:59]
	v_mul_f64 v[82:83], v[38:39], v[78:79]
	v_add_f64 v[43:44], v[43:44], -v[8:9]
	v_fma_f64 v[109:110], v[82:83], s[48:49], v[0:1]
	v_fma_f64 v[0:1], v[72:73], s[66:67], v[27:28]
	v_mul_f64 v[27:28], v[12:13], v[12:13]
	v_mul_f64 v[10:11], v[43:44], v[10:11]
	v_fma_f64 v[90:91], v[27:28], s[6:7], s[4:5]
	v_mul_f64 v[10:11], v[10:11], v[107:108]
	v_fma_f64 v[90:91], v[27:28], v[90:91], s[10:11]
	v_mul_f64 v[78:79], v[38:39], v[10:11]
	v_mul_f64 v[10:11], v[27:28], 0.5
	v_fma_f64 v[90:91], v[27:28], v[90:91], s[12:13]
	v_fma_f64 v[32:33], v[78:79], s[48:49], v[32:33]
	v_add_f64 v[43:44], -v[10:11], 1.0
	v_fma_f64 v[90:91], v[27:28], v[90:91], s[14:15]
	v_add_f64 v[88:89], -v[43:44], 1.0
	v_fma_f64 v[90:91], v[27:28], v[90:91], s[16:17]
	v_add_f64 v[10:11], v[88:89], -v[10:11]
	v_mul_f64 v[88:89], v[27:28], v[27:28]
	v_fma_f64 v[10:11], v[12:13], -v[14:15], v[10:11]
	v_fma_f64 v[10:11], v[88:89], v[90:91], v[10:11]
	v_mul_f64 v[88:89], v[12:13], -v[27:28]
	v_mul_f64 v[90:91], v[14:15], 0.5
	v_add_f64 v[10:11], v[43:44], v[10:11]
	v_fma_f64 v[43:44], v[27:28], s[20:21], s[18:19]
	v_fma_f64 v[43:44], v[27:28], v[43:44], s[22:23]
	;; [unrolled: 1-line block ×5, first 2 shown]
	v_fma_f64 v[14:15], v[27:28], v[43:44], -v[14:15]
	v_fma_f64 v[14:15], v[88:89], s[28:29], v[14:15]
	v_add_f64 v[12:13], v[12:13], -v[14:15]
	v_xor_b32_e32 v2, 0x80000000, v13
	v_cndmask_b32_e32 v3, v12, v10, vcc_lo
	v_cndmask_b32_e32 v2, v2, v11, vcc_lo
	v_cndmask_b32_e64 v28, 0, v3, s0
	v_mul_f64 v[10:11], v[109:110], v[109:110]
	v_xor_b32_e32 v2, v2, v4
	v_cndmask_b32_e64 v29, 0x7ff80000, v2, s0
	v_mul_f64 v[12:13], v[28:29], v[28:29]
	v_fma_f64 v[14:15], v[8:9], v[12:13], v[10:11]
	v_div_scale_f64 v[12:13], null, v[14:15], v[14:15], 1.0
	v_rcp_f64_e32 v[40:41], v[12:13]
	v_fma_f64 v[43:44], -v[12:13], v[40:41], 1.0
	v_fma_f64 v[40:41], v[40:41], v[43:44], v[40:41]
	v_fma_f64 v[43:44], -v[12:13], v[40:41], 1.0
	v_fma_f64 v[40:41], v[40:41], v[43:44], v[40:41]
	v_div_scale_f64 v[43:44], vcc_lo, 1.0, v[14:15], 1.0
	v_mul_f64 v[88:89], v[43:44], v[40:41]
	v_fma_f64 v[12:13], -v[12:13], v[88:89], v[43:44]
                                        ; implicit-def: $vgpr44
	v_div_fmas_f64 v[12:13], v[12:13], v[40:41], v[88:89]
	v_div_fixup_f64 v[12:13], v[12:13], v[14:15], 1.0
	v_mul_f64 v[32:33], v[12:13], -v[32:33]
	v_mul_f64 v[32:33], v[38:39], v[32:33]
	v_fma_f64 v[111:112], 0x3fafa000, v[32:33], v[0:1]
	v_cmp_ngt_f64_e64 s1, 0x41d00000, |v[111:112]|
	v_trig_preop_f64 v[98:99], |v[111:112]|, 0
	v_trig_preop_f64 v[90:91], |v[111:112]|, 1
	v_ldexp_f64 v[40:41], |v[111:112]|, 0xffffff80
	v_trig_preop_f64 v[88:89], |v[111:112]|, 2
	v_and_b32_e32 v45, 0x7fffffff, v112
	s_and_saveexec_b32 s2, s1
	s_xor_b32 s28, exec_lo, s2
	s_cbranch_execz .LBB0_124
; %bb.123:                              ;   in Loop: Header=BB0_90 Depth=2
	v_cmp_le_f64_e64 vcc_lo, 0x7b000000, |v[111:112]|
	s_mov_b32 s2, s56
	s_mov_b32 s91, s89
	v_cndmask_b32_e32 v1, v45, v41, vcc_lo
	v_cndmask_b32_e32 v0, v111, v40, vcc_lo
	v_mul_f64 v[121:122], v[98:99], v[0:1]
	v_mul_f64 v[43:44], v[90:91], v[0:1]
	v_fma_f64 v[123:124], v[98:99], v[0:1], -v[121:122]
	v_add_f64 v[125:126], v[43:44], v[123:124]
	v_add_f64 v[4:5], v[125:126], -v[43:44]
	v_add_f64 v[46:47], v[121:122], v[125:126]
	v_add_f64 v[123:124], v[123:124], -v[4:5]
	v_add_f64 v[4:5], v[125:126], -v[4:5]
	v_ldexp_f64 v[30:31], v[46:47], -2
	v_add_f64 v[46:47], v[46:47], -v[121:122]
	v_add_f64 v[4:5], v[43:44], -v[4:5]
	v_fma_f64 v[43:44], v[90:91], v[0:1], -v[43:44]
	v_add_f64 v[46:47], v[125:126], -v[46:47]
	v_fract_f64_e32 v[2:3], v[30:31]
	v_cmp_neq_f64_e64 vcc_lo, 0x7ff00000, |v[30:31]|
	v_add_f64 v[4:5], v[123:124], v[4:5]
	v_mul_f64 v[123:124], v[88:89], v[0:1]
	v_ldexp_f64 v[2:3], v[2:3], 2
	v_add_f64 v[48:49], v[123:124], v[43:44]
	v_fma_f64 v[0:1], v[88:89], v[0:1], -v[123:124]
	v_cndmask_b32_e32 v3, 0, v3, vcc_lo
	v_cndmask_b32_e32 v2, 0, v2, vcc_lo
	v_add_f64 v[50:51], v[48:49], v[4:5]
	v_add_f64 v[121:122], v[46:47], v[50:51]
	v_add_f64 v[125:126], v[50:51], -v[48:49]
	v_add_f64 v[46:47], v[121:122], -v[46:47]
	;; [unrolled: 1-line block ×6, first 2 shown]
	v_add_f64 v[4:5], v[4:5], v[50:51]
	v_add_f64 v[50:51], v[48:49], -v[123:124]
	v_add_f64 v[48:49], v[48:49], -v[50:51]
	;; [unrolled: 1-line block ×4, first 2 shown]
	v_add_f64 v[43:44], v[43:44], v[48:49]
	v_add_f64 v[4:5], v[43:44], v[4:5]
	;; [unrolled: 1-line block ×5, first 2 shown]
	v_cmp_gt_f64_e32 vcc_lo, 0, v[4:5]
	v_cndmask_b32_e64 v27, 0, 0x40100000, vcc_lo
	v_add_f64 v[2:3], v[2:3], v[26:27]
	v_add_f64 v[4:5], v[121:122], v[2:3]
	v_cvt_i32_f64_e32 v24, v[4:5]
	v_cvt_f64_i32_e32 v[4:5], v24
	v_add_f64 v[2:3], v[2:3], -v[4:5]
	v_add_f64 v[4:5], v[121:122], v[2:3]
	v_add_f64 v[2:3], v[4:5], -v[2:3]
	v_cmp_le_f64_e32 vcc_lo, 0.5, v[4:5]
	v_add_f64 v[2:3], v[121:122], -v[2:3]
	v_cndmask_b32_e64 v27, 0, 0x3ff00000, vcc_lo
	v_add_co_ci_u32_e64 v44, null, 0, v24, vcc_lo
	v_add_f64 v[0:1], v[0:1], v[2:3]
	v_add_f64 v[2:3], v[4:5], -v[26:27]
	v_add_f64 v[4:5], v[2:3], v[0:1]
	v_add_f64 v[2:3], v[4:5], -v[2:3]
	v_add_f64 v[0:1], v[0:1], -v[2:3]
	v_mul_f64 v[2:3], v[4:5], s[2:3]
	v_fma_f64 v[30:31], v[4:5], s[2:3], -v[2:3]
	v_fma_f64 v[4:5], v[4:5], s[90:91], v[30:31]
	v_fma_f64 v[0:1], v[0:1], s[2:3], v[4:5]
	v_add_f64 v[123:124], v[2:3], v[0:1]
	v_add_f64 v[2:3], v[123:124], -v[2:3]
	v_add_f64 v[125:126], v[0:1], -v[2:3]
	s_andn2_saveexec_b32 s2, s28
	s_cbranch_execz .LBB0_126
	s_branch .LBB0_125
.LBB0_124:                              ;   in Loop: Header=BB0_90 Depth=2
	s_andn2_saveexec_b32 s2, s28
	s_cbranch_execz .LBB0_126
.LBB0_125:                              ;   in Loop: Header=BB0_90 Depth=2
	v_mul_f64 v[0:1], |v[111:112]|, s[92:93]
	s_mov_b32 s88, s94
	v_rndne_f64_e32 v[0:1], v[0:1]
	v_fma_f64 v[43:44], v[0:1], s[56:57], |v[111:112]|
	v_mul_f64 v[121:122], v[0:1], s[94:95]
	v_fma_f64 v[125:126], v[0:1], s[94:95], v[43:44]
	v_add_f64 v[123:124], v[43:44], v[121:122]
	v_add_f64 v[43:44], v[43:44], -v[123:124]
	v_add_f64 v[123:124], v[123:124], -v[125:126]
	v_add_f64 v[43:44], v[43:44], v[121:122]
	v_fma_f64 v[121:122], v[0:1], s[88:89], v[121:122]
	v_add_f64 v[43:44], v[123:124], v[43:44]
	v_add_f64 v[43:44], v[43:44], -v[121:122]
	v_fma_f64 v[43:44], v[0:1], s[96:97], v[43:44]
	v_add_f64 v[123:124], v[125:126], v[43:44]
	v_add_f64 v[121:122], v[123:124], -v[125:126]
	v_add_f64 v[125:126], v[43:44], -v[121:122]
	v_cvt_i32_f64_e32 v44, v[0:1]
.LBB0_126:                              ;   in Loop: Header=BB0_90 Depth=2
	s_or_b32 exec_lo, exec_lo, s2
                                        ; implicit-def: $vgpr43
                                        ; implicit-def: $vgpr121_vgpr122
                                        ; implicit-def: $vgpr0_vgpr1
	s_and_saveexec_b32 s2, s1
	s_xor_b32 s1, exec_lo, s2
	s_cbranch_execz .LBB0_128
; %bb.127:                              ;   in Loop: Header=BB0_90 Depth=2
	v_cmp_le_f64_e64 vcc_lo, 0x7b000000, |v[111:112]|
	s_mov_b32 s2, s56
	s_mov_b32 s91, s89
	v_cndmask_b32_e32 v1, v45, v41, vcc_lo
	v_cndmask_b32_e32 v0, v111, v40, vcc_lo
	v_mul_f64 v[4:5], v[98:99], v[0:1]
	v_mul_f64 v[2:3], v[90:91], v[0:1]
	v_fma_f64 v[30:31], v[98:99], v[0:1], -v[4:5]
	v_add_f64 v[40:41], v[2:3], v[30:31]
	v_add_f64 v[98:99], v[40:41], -v[2:3]
	v_add_f64 v[45:46], v[4:5], v[40:41]
	v_add_f64 v[30:31], v[30:31], -v[98:99]
	v_add_f64 v[98:99], v[40:41], -v[98:99]
	v_ldexp_f64 v[47:48], v[45:46], -2
	v_add_f64 v[4:5], v[45:46], -v[4:5]
	v_add_f64 v[98:99], v[2:3], -v[98:99]
	v_fma_f64 v[2:3], v[90:91], v[0:1], -v[2:3]
	v_mul_f64 v[90:91], v[88:89], v[0:1]
	v_add_f64 v[4:5], v[40:41], -v[4:5]
	v_fract_f64_e32 v[49:50], v[47:48]
	v_cmp_neq_f64_e64 vcc_lo, 0x7ff00000, |v[47:48]|
	v_add_f64 v[30:31], v[30:31], v[98:99]
	v_add_f64 v[98:99], v[90:91], v[2:3]
	v_fma_f64 v[0:1], v[88:89], v[0:1], -v[90:91]
	v_add_f64 v[121:122], v[98:99], v[30:31]
	v_add_f64 v[45:46], v[121:122], -v[98:99]
	v_add_f64 v[40:41], v[4:5], v[121:122]
	v_add_f64 v[30:31], v[30:31], -v[45:46]
	v_add_f64 v[45:46], v[121:122], -v[45:46]
	;; [unrolled: 1-line block ×5, first 2 shown]
	v_add_f64 v[30:31], v[30:31], v[45:46]
	v_add_f64 v[45:46], v[98:99], -v[90:91]
	v_add_f64 v[2:3], v[2:3], -v[45:46]
	;; [unrolled: 1-line block ×4, first 2 shown]
	v_add_f64 v[2:3], v[2:3], v[45:46]
	v_add_f64 v[2:3], v[2:3], v[30:31]
	;; [unrolled: 1-line block ×3, first 2 shown]
	v_ldexp_f64 v[2:3], v[49:50], 2
	v_add_f64 v[0:1], v[4:5], v[0:1]
	v_cndmask_b32_e32 v3, 0, v3, vcc_lo
	v_cndmask_b32_e32 v2, 0, v2, vcc_lo
	v_add_f64 v[4:5], v[40:41], v[2:3]
	v_cmp_gt_f64_e32 vcc_lo, 0, v[4:5]
	v_cndmask_b32_e64 v27, 0, 0x40100000, vcc_lo
	v_add_f64 v[2:3], v[2:3], v[26:27]
	v_add_f64 v[4:5], v[40:41], v[2:3]
	v_cvt_i32_f64_e32 v24, v[4:5]
	v_cvt_f64_i32_e32 v[4:5], v24
	v_add_f64 v[2:3], v[2:3], -v[4:5]
	v_add_f64 v[4:5], v[40:41], v[2:3]
	v_add_f64 v[2:3], v[4:5], -v[2:3]
	v_cmp_le_f64_e32 vcc_lo, 0.5, v[4:5]
	v_add_f64 v[2:3], v[40:41], -v[2:3]
	v_cndmask_b32_e64 v27, 0, 0x3ff00000, vcc_lo
	v_add_co_ci_u32_e64 v43, null, 0, v24, vcc_lo
	v_add_f64 v[0:1], v[0:1], v[2:3]
	v_add_f64 v[2:3], v[4:5], -v[26:27]
	v_add_f64 v[4:5], v[2:3], v[0:1]
	v_add_f64 v[2:3], v[4:5], -v[2:3]
	v_add_f64 v[0:1], v[0:1], -v[2:3]
	v_mul_f64 v[2:3], v[4:5], s[2:3]
	v_fma_f64 v[30:31], v[4:5], s[2:3], -v[2:3]
	v_fma_f64 v[4:5], v[4:5], s[90:91], v[30:31]
	v_fma_f64 v[0:1], v[0:1], s[2:3], v[4:5]
	v_add_f64 v[121:122], v[2:3], v[0:1]
	v_add_f64 v[2:3], v[121:122], -v[2:3]
	v_add_f64 v[0:1], v[0:1], -v[2:3]
.LBB0_128:                              ;   in Loop: Header=BB0_90 Depth=2
	s_or_saveexec_b32 s1, s1
	v_mov_b32_e32 v16, v58
	v_mov_b32_e32 v22, v56
	;; [unrolled: 1-line block ×6, first 2 shown]
	s_xor_b32 exec_lo, exec_lo, s1
	s_cbranch_execz .LBB0_130
; %bb.129:                              ;   in Loop: Header=BB0_90 Depth=2
	v_mul_f64 v[0:1], |v[111:112]|, s[92:93]
	s_mov_b32 s88, s94
	v_rndne_f64_e32 v[2:3], v[0:1]
	v_fma_f64 v[0:1], v[2:3], s[56:57], |v[111:112]|
	v_mul_f64 v[4:5], v[2:3], s[94:95]
	v_cvt_i32_f64_e32 v43, v[2:3]
	v_fma_f64 v[40:41], v[2:3], s[94:95], v[0:1]
	v_add_f64 v[30:31], v[0:1], v[4:5]
	v_add_f64 v[0:1], v[0:1], -v[30:31]
	v_add_f64 v[30:31], v[30:31], -v[40:41]
	v_add_f64 v[0:1], v[0:1], v[4:5]
	v_fma_f64 v[4:5], v[2:3], s[88:89], v[4:5]
	v_add_f64 v[0:1], v[30:31], v[0:1]
	v_add_f64 v[0:1], v[0:1], -v[4:5]
	v_fma_f64 v[0:1], v[2:3], s[96:97], v[0:1]
	v_add_f64 v[121:122], v[40:41], v[0:1]
	v_add_f64 v[4:5], v[121:122], -v[40:41]
	v_add_f64 v[0:1], v[0:1], -v[4:5]
.LBB0_130:                              ;   in Loop: Header=BB0_90 Depth=2
	s_or_b32 exec_lo, exec_lo, s1
	s_clause 0x1
	buffer_load_dword v18, off, s[100:103], 0 offset:48
	buffer_load_dword v19, off, s[100:103], 0 offset:52
	v_add_f64 v[84:85], v[84:85], -v[115:116]
	v_fma_f64 v[4:5], v[64:65], s[46:47], v[52:53]
	v_mul_f64 v[34:35], v[34:35], v[105:106]
	v_add_f64 v[2:3], v[94:95], v[94:95]
	v_mul_f64 v[49:50], v[64:65], s[68:69]
	v_mul_f64 v[98:99], v[60:61], s[68:69]
	;; [unrolled: 1-line block ×3, first 2 shown]
	s_mov_b32 s48, s50
	s_mov_b32 s28, s16
	v_mul_f64 v[40:41], v[36:37], s[68:69]
	s_mov_b32 s74, s76
	s_mov_b32 s1, -1
	v_fma_f64 v[4:5], 0x40040000, v[86:87], v[4:5]
	v_fma_f64 v[30:31], v[70:71], s[70:71], -v[30:31]
	v_fma_f64 v[40:41], v[66:67], s[70:71], -v[40:41]
	v_fma_f64 v[4:5], v[74:75], s[50:51], v[4:5]
	s_waitcnt vmcnt(0)
	v_mul_f64 v[18:19], v[18:19], v[38:39]
	buffer_store_dword v18, off, s[100:103], 0 offset:128 ; 4-byte Folded Spill
	buffer_store_dword v19, off, s[100:103], 0 offset:132 ; 4-byte Folded Spill
	v_mul_f64 v[45:46], v[18:19], s[68:69]
	s_clause 0x1
	buffer_load_dword v18, off, s[100:103], 0 offset:56
	buffer_load_dword v19, off, s[100:103], 0 offset:60
	s_waitcnt vmcnt(0)
	v_mul_f64 v[18:19], v[38:39], -v[18:19]
	buffer_store_dword v18, off, s[100:103], 0 offset:136 ; 4-byte Folded Spill
	buffer_store_dword v19, off, s[100:103], 0 offset:140 ; 4-byte Folded Spill
	s_clause 0x1
	buffer_load_dword v88, off, s[100:103], 0 offset:32
	buffer_load_dword v89, off, s[100:103], 0 offset:36
	v_mul_f64 v[47:48], v[18:19], s[68:69]
	v_mov_b32_e32 v18, v52
	s_waitcnt vmcnt(0)
	v_mul_f64 v[84:85], v[88:89], v[84:85]
	v_mov_b32_e32 v19, v53
	v_mul_f64 v[51:52], s[8:9], v[115:116]
	v_div_scale_f64 v[53:54], null, v[92:93], v[92:93], v[84:85]
	v_fma_f64 v[51:52], -v[88:89], v[51:52], v[119:120]
	s_clause 0x3
	buffer_load_dword v119, off, s[100:103], 0 offset:8
	buffer_load_dword v120, off, s[100:103], 0 offset:12
	;; [unrolled: 1-line block ×4, first 2 shown]
	v_rcp_f64_e32 v[55:56], v[53:54]
	v_fma_f64 v[51:52], v[51:52], v[117:118], 1.0
	v_fma_f64 v[57:58], -v[53:54], v[55:56], 1.0
	v_fma_f64 v[55:56], v[55:56], v[57:58], v[55:56]
	v_fma_f64 v[57:58], -v[53:54], v[55:56], 1.0
	v_fma_f64 v[55:56], v[55:56], v[57:58], v[55:56]
	v_div_scale_f64 v[57:58], vcc_lo, v[84:85], v[92:93], v[84:85]
	v_mul_f64 v[24:25], v[57:58], v[55:56]
	v_fma_f64 v[53:54], -v[53:54], v[24:25], v[57:58]
	v_div_fmas_f64 v[24:25], v[53:54], v[55:56], v[24:25]
	v_div_fixup_f64 v[24:25], v[24:25], v[92:93], v[84:85]
	v_mul_f64 v[92:93], v[38:39], -v[51:52]
	v_div_scale_f64 v[51:52], null, v[34:35], v[34:35], 1.0
	v_fma_f64 v[24:25], s[8:9], v[115:116], v[24:25]
	v_rcp_f64_e32 v[53:54], v[51:52]
	v_mul_f64 v[24:25], v[117:118], -v[24:25]
	v_fma_f64 v[55:56], -v[51:52], v[53:54], 1.0
	v_mul_f64 v[84:85], v[38:39], v[24:25]
	v_fma_f64 v[53:54], v[53:54], v[55:56], v[53:54]
	v_fma_f64 v[24:25], v[84:85], s[70:71], -v[45:46]
	v_fma_f64 v[45:46], v[92:93], s[70:71], -v[47:48]
	;; [unrolled: 1-line block ×4, first 2 shown]
	v_fma_f64 v[55:56], -v[51:52], v[53:54], 1.0
	v_fma_f64 v[53:54], v[53:54], v[55:56], v[53:54]
	v_div_scale_f64 v[55:56], vcc_lo, 1.0, v[34:35], 1.0
	v_mul_f64 v[57:58], v[55:56], v[53:54]
	v_fma_f64 v[51:52], -v[51:52], v[57:58], v[55:56]
	v_div_fmas_f64 v[51:52], v[51:52], v[53:54], v[57:58]
	v_add_f64 v[53:54], v[105:106], -v[2:3]
	v_div_fixup_f64 v[34:35], v[51:52], v[34:35], 1.0
	v_mul_f64 v[53:54], v[88:89], v[53:54]
	v_mul_f64 v[51:52], s[8:9], v[2:3]
	v_div_scale_f64 v[55:56], null, v[6:7], v[6:7], v[53:54]
	v_rcp_f64_e32 v[57:58], v[55:56]
	v_fma_f64 v[98:99], -v[55:56], v[57:58], 1.0
	v_fma_f64 v[57:58], v[57:58], v[98:99], v[57:58]
	v_fma_f64 v[98:99], -v[55:56], v[57:58], 1.0
	v_fma_f64 v[57:58], v[57:58], v[98:99], v[57:58]
	v_div_scale_f64 v[98:99], vcc_lo, v[53:54], v[6:7], v[53:54]
	v_mul_f64 v[105:106], v[98:99], v[57:58]
	v_fma_f64 v[55:56], -v[55:56], v[105:106], v[98:99]
	v_div_fmas_f64 v[55:56], v[55:56], v[57:58], v[105:106]
	v_fma_f64 v[105:106], v[82:83], s[72:73], v[30:31]
	v_mul_f64 v[30:31], v[103:104], 0.5
	v_mov_b32_e32 v59, v17
	v_mov_b32_e32 v58, v16
	s_clause 0x1
	buffer_load_dword v16, off, s[100:103], 0 offset:80
	buffer_load_dword v17, off, s[100:103], 0 offset:84
	v_div_fixup_f64 v[6:7], v[55:56], v[6:7], v[53:54]
	v_add_f64 v[53:54], v[8:9], v[96:97]
	v_add_f64 v[55:56], v[113:114], v[113:114]
	v_fma_f64 v[6:7], s[8:9], v[2:3], v[6:7]
	v_mul_f64 v[2:3], v[2:3], v[53:54]
	v_add_f64 v[53:54], v[94:95], -1.0
	v_mul_f64 v[55:56], v[113:114], v[55:56]
	v_fma_f64 v[113:114], v[78:79], s[72:73], v[49:50]
	v_mul_f64 v[6:7], v[34:35], -v[6:7]
	v_fma_f64 v[51:52], -v[88:89], v[51:52], v[2:3]
	s_waitcnt vmcnt(4)
	v_fma_f64 v[2:3], -v[119:120], v[53:54], v[2:3]
	v_mul_f64 v[53:54], v[53:54], v[55:56]
	v_mov_b32_e32 v57, v23
	v_mov_b32_e32 v56, v22
	v_mul_f64 v[94:95], v[38:39], v[6:7]
	v_fma_f64 v[51:52], v[51:52], v[34:35], 1.0
	s_waitcnt vmcnt(2)
	v_add_f64 v[2:3], v[2:3], -v[90:91]
	v_mul_f64 v[53:54], v[53:54], v[107:108]
	v_fma_f64 v[107:108], v[72:73], s[72:73], v[40:41]
	v_fma_f64 v[6:7], v[94:95], s[72:73], v[24:25]
	v_mul_f64 v[96:97], v[38:39], -v[51:52]
	v_fma_f64 v[2:3], v[2:3], v[34:35], -v[53:54]
	v_fma_f64 v[34:35], v[96:97], s[72:73], v[45:46]
	v_mul_f64 v[98:99], v[38:39], -v[2:3]
	v_and_b32_e32 v2, 1, v42
	v_cmp_eq_u32_e32 vcc_lo, 0, v2
	v_mul_f64 v[2:3], v[101:102], v[101:102]
	v_fma_f64 v[117:118], v[98:99], s[48:49], v[4:5]
	v_fma_f64 v[115:116], v[98:99], s[72:73], v[47:48]
	;; [unrolled: 1-line block ×3, first 2 shown]
	v_mul_f64 v[4:5], v[101:102], -v[2:3]
	v_fma_f64 v[45:46], v[2:3], s[6:7], s[4:5]
	v_mul_f64 v[40:41], v[2:3], v[2:3]
	v_fma_f64 v[24:25], v[2:3], v[24:25], s[22:23]
	v_fma_f64 v[45:46], v[2:3], v[45:46], s[10:11]
	;; [unrolled: 1-line block ×7, first 2 shown]
	v_fma_f64 v[24:25], v[2:3], v[24:25], -v[103:104]
	v_fma_f64 v[4:5], v[4:5], s[28:29], v[24:25]
	v_mul_f64 v[24:25], v[2:3], 0.5
	v_fma_f64 v[2:3], v[2:3], v[45:46], s[16:17]
	v_add_f64 v[4:5], v[101:102], -v[4:5]
	v_add_f64 v[30:31], -v[24:25], 1.0
	v_add_f64 v[45:46], -v[30:31], 1.0
	v_add_f64 v[24:25], v[45:46], -v[24:25]
	v_fma_f64 v[24:25], v[101:102], -v[103:104], v[24:25]
	v_fma_f64 v[2:3], v[40:41], v[2:3], v[24:25]
	v_add_f64 v[24:25], v[109:110], v[109:110]
	v_add_f64 v[2:3], v[30:31], v[2:3]
	v_fma_f64 v[30:31], v[109:110], -2.0, v[10:11]
	v_add_f64 v[10:11], v[8:9], v[10:11]
	v_cndmask_b32_e32 v2, v2, v4, vcc_lo
	v_add_f64 v[30:31], v[8:9], v[30:31]
	v_cndmask_b32_e32 v3, v3, v5, vcc_lo
	v_lshlrev_b32_e32 v4, 30, v42
	v_mul_f64 v[10:11], v[24:25], v[10:11]
	v_cndmask_b32_e64 v2, 0, v2, s0
	v_xor_b32_e32 v4, v4, v100
	v_and_b32_e32 v4, 0x80000000, v4
	v_xor_b32_e32 v3, v3, v4
	v_mul_f64 v[40:41], v[30:31], v[14:15]
	v_fma_f64 v[14:15], v[109:110], -2.0, v[14:15]
	v_cndmask_b32_e64 v3, 0x7ff80000, v3, s0
	v_mul_f64 v[30:31], v[30:31], -v[117:118]
	v_mul_f64 v[4:5], v[2:3], v[2:3]
	v_cmp_gt_f64_e64 s0, s[98:99], v[2:3]
	v_div_scale_f64 v[45:46], null, v[40:41], v[40:41], 1.0
	v_mul_f64 v[14:15], v[88:89], v[14:15]
	v_mul_f64 v[30:31], v[30:31], v[12:13]
	v_cndmask_b32_e64 v5, v5, 0x3c9cd2b2, s0
	v_cndmask_b32_e64 v4, v4, 0x97d889bc, s0
	;; [unrolled: 1-line block ×4, first 2 shown]
	v_mul_f64 v[2:3], -v[2:3], v[28:29]
	v_rcp_f64_e32 v[47:48], v[45:46]
	v_fma_f64 v[49:50], -v[45:46], v[47:48], 1.0
	v_fma_f64 v[47:48], v[47:48], v[49:50], v[47:48]
	v_fma_f64 v[49:50], -v[45:46], v[47:48], 1.0
	v_fma_f64 v[47:48], v[47:48], v[49:50], v[47:48]
	v_div_scale_f64 v[49:50], vcc_lo, 1.0, v[40:41], 1.0
	v_mul_f64 v[51:52], v[49:50], v[47:48]
	v_fma_f64 v[45:46], -v[45:46], v[51:52], v[49:50]
	v_div_fmas_f64 v[45:46], v[45:46], v[47:48], v[51:52]
	v_div_scale_f64 v[47:48], null, v[4:5], v[4:5], v[14:15]
	v_div_fixup_f64 v[40:41], v[45:46], v[40:41], 1.0
	v_rcp_f64_e32 v[49:50], v[47:48]
	v_mul_f64 v[45:46], s[8:9], v[24:25]
	v_fma_f64 v[51:52], -v[47:48], v[49:50], 1.0
	v_fma_f64 v[49:50], v[49:50], v[51:52], v[49:50]
	v_fma_f64 v[51:52], -v[47:48], v[49:50], 1.0
	v_fma_f64 v[49:50], v[49:50], v[51:52], v[49:50]
	v_div_scale_f64 v[51:52], vcc_lo, v[14:15], v[4:5], v[14:15]
	v_mul_f64 v[53:54], v[51:52], v[49:50]
	v_fma_f64 v[47:48], -v[47:48], v[53:54], v[51:52]
	v_div_fmas_f64 v[47:48], v[47:48], v[49:50], v[53:54]
	v_mov_b32_e32 v53, v19
	v_mov_b32_e32 v52, v18
	;; [unrolled: 1-line block ×4, first 2 shown]
	v_div_fixup_f64 v[14:15], v[47:48], v[4:5], v[14:15]
	v_add_f64 v[47:48], v[117:118], v[117:118]
	v_mul_f64 v[4:5], v[4:5], v[4:5]
	v_fma_f64 v[14:15], s[8:9], v[24:25], v[14:15]
	v_fma_f64 v[24:25], -v[88:89], v[45:46], v[10:11]
	v_add_f64 v[45:46], v[109:110], -1.0
	v_mul_f64 v[47:48], v[117:118], v[47:48]
	v_div_scale_f64 v[27:28], null, v[4:5], v[4:5], v[58:59]
	v_mul_f64 v[14:15], v[40:41], v[14:15]
	v_fma_f64 v[24:25], v[24:25], v[40:41], 1.0
	v_fma_f64 v[10:11], -v[119:120], v[45:46], v[10:11]
	v_mul_f64 v[45:46], v[45:46], v[47:48]
	v_add_f64 v[10:11], v[10:11], -v[90:91]
	v_mul_f64 v[45:46], v[45:46], v[12:13]
	v_fma_f64 v[10:11], v[10:11], v[40:41], -v[45:46]
	v_rcp_f64_e32 v[40:41], v[27:28]
	v_fma_f64 v[45:46], -v[27:28], v[40:41], 1.0
	v_fma_f64 v[40:41], v[40:41], v[45:46], v[40:41]
	v_fma_f64 v[45:46], -v[27:28], v[40:41], 1.0
	v_fma_f64 v[40:41], v[40:41], v[45:46], v[40:41]
	v_div_scale_f64 v[45:46], vcc_lo, v[58:59], v[4:5], v[58:59]
	v_mul_f64 v[47:48], v[45:46], v[40:41]
	v_fma_f64 v[27:28], -v[27:28], v[47:48], v[45:46]
	v_div_fmas_f64 v[27:28], v[27:28], v[40:41], v[47:48]
	v_cmp_class_f64_e64 vcc_lo, v[111:112], 0x1f8
	v_div_fixup_f64 v[4:5], v[27:28], v[4:5], v[58:59]
	v_fma_f64 v[27:28], v[32:33], s[76:77], v[107:108]
	v_add_f64 v[4:5], v[4:5], -v[8:9]
	v_mul_f64 v[2:3], v[4:5], v[2:3]
	v_mul_f64 v[4:5], v[38:39], v[30:31]
	;; [unrolled: 1-line block ×4, first 2 shown]
	v_fma_f64 v[100:101], v[4:5], s[76:77], v[105:106]
	v_mul_f64 v[2:3], v[38:39], v[2:3]
	v_fma_f64 v[102:103], v[12:13], s[74:75], v[6:7]
	v_mul_f64 v[6:7], v[38:39], v[24:25]
	v_mul_f64 v[24:25], v[125:126], 0.5
	v_fma_f64 v[108:109], v[2:3], s[76:77], v[113:114]
	v_fma_f64 v[104:105], v[6:7], s[74:75], v[34:35]
	v_mul_f64 v[6:7], v[38:39], -v[10:11]
	v_fma_f64 v[10:11], v[60:61], s[58:59], v[56:57]
	v_mul_f64 v[34:35], v[121:122], v[121:122]
	v_fma_f64 v[106:107], v[6:7], s[76:77], v[115:116]
	v_fma_f64 v[10:11], 0x3fd5e000, v[80:81], v[10:11]
	;; [unrolled: 1-line block ×15, first 2 shown]
	v_and_b32_e32 v2, 1, v44
	v_cmp_eq_u32_e64 s0, 0, v2
	v_mul_f64 v[2:3], v[123:124], v[123:124]
	v_fma_f64 v[14:15], v[2:3], s[20:21], s[18:19]
	v_mul_f64 v[4:5], v[123:124], -v[2:3]
	v_fma_f64 v[31:32], v[2:3], s[6:7], s[4:5]
	v_mul_f64 v[29:30], v[2:3], v[2:3]
	v_fma_f64 v[14:15], v[2:3], v[14:15], s[22:23]
	v_fma_f64 v[31:32], v[2:3], v[31:32], s[10:11]
	;; [unrolled: 1-line block ×7, first 2 shown]
	v_fma_f64 v[14:15], v[2:3], v[14:15], -v[125:126]
	v_fma_f64 v[4:5], v[4:5], s[28:29], v[14:15]
	v_mul_f64 v[14:15], v[2:3], 0.5
	v_fma_f64 v[2:3], v[2:3], v[31:32], s[16:17]
	v_add_f64 v[4:5], v[123:124], -v[4:5]
	v_add_f64 v[24:25], -v[14:15], 1.0
	v_add_f64 v[31:32], -v[24:25], 1.0
	v_add_f64 v[14:15], v[31:32], -v[14:15]
	v_fma_f64 v[14:15], v[123:124], -v[125:126], v[14:15]
	v_fma_f64 v[2:3], v[29:30], v[2:3], v[14:15]
	v_fma_f64 v[29:30], v[34:35], s[6:7], s[4:5]
	v_add_f64 v[2:3], v[24:25], v[2:3]
	v_fma_f64 v[29:30], v[34:35], v[29:30], s[10:11]
	v_cndmask_b32_e64 v2, v2, v4, s0
	v_lshlrev_b32_e32 v4, 30, v44
	v_cndmask_b32_e64 v3, v3, v5, s0
	v_fma_f64 v[29:30], v[34:35], v[29:30], s[12:13]
	v_cndmask_b32_e32 v14, 0, v2, vcc_lo
	v_xor_b32_e32 v4, v4, v112
	v_and_b32_e32 v4, 0x80000000, v4
	v_xor_b32_e32 v3, v3, v4
	v_cndmask_b32_e32 v15, 0x7ff80000, v3, vcc_lo
	v_mul_f64 v[2:3], v[34:35], 0.5
	v_fma_f64 v[29:30], v[34:35], v[29:30], s[14:15]
	v_add_f64 v[4:5], -v[2:3], 1.0
	v_fma_f64 v[29:30], v[34:35], v[29:30], s[16:17]
	v_add_f64 v[24:25], -v[4:5], 1.0
	v_add_f64 v[2:3], v[24:25], -v[2:3]
	v_mul_f64 v[24:25], v[34:35], v[34:35]
	v_fma_f64 v[2:3], v[121:122], -v[0:1], v[2:3]
	v_fma_f64 v[2:3], v[24:25], v[29:30], v[2:3]
	v_mul_f64 v[24:25], v[0:1], 0.5
	v_add_f64 v[32:33], v[4:5], v[2:3]
	v_fma_f64 v[2:3], v[34:35], s[20:21], s[18:19]
	v_mul_f64 v[4:5], v[121:122], -v[34:35]
	v_fma_f64 v[2:3], v[34:35], v[2:3], s[22:23]
	v_fma_f64 v[2:3], v[34:35], v[2:3], s[24:25]
	;; [unrolled: 1-line block ×4, first 2 shown]
	v_add_f64 v[24:25], v[10:11], v[10:11]
	v_fma_f64 v[0:1], v[34:35], v[2:3], -v[0:1]
	v_and_b32_e32 v2, 1, v43
	v_cmp_eq_u32_e64 s0, 0, v2
	v_lshlrev_b32_e32 v2, 30, v43
	v_and_b32_e32 v2, 0x80000000, v2
	v_fma_f64 v[0:1], v[4:5], s[28:29], v[0:1]
	v_add_f64 v[0:1], v[121:122], -v[0:1]
	v_xor_b32_e32 v1, 0x80000000, v1
	v_cndmask_b32_e64 v0, v0, v32, s0
	v_cndmask_b32_e64 v1, v1, v33, s0
	v_cmp_gt_f64_e64 s0, s[98:99], v[14:15]
	v_xor_b32_e32 v1, v1, v2
	v_cndmask_b32_e32 v2, 0, v0, vcc_lo
	v_cndmask_b32_e32 v3, 0x7ff80000, v1, vcc_lo
	v_mul_f64 v[0:1], v[14:15], v[14:15]
	v_cndmask_b32_e64 v35, v1, 0x3c9cd2b2, s0
	v_cndmask_b32_e64 v34, v0, 0x97d889bc, s0
	v_mul_f64 v[0:1], v[2:3], v[2:3]
	v_mul_f64 v[0:1], v[8:9], v[0:1]
	v_fma_f64 v[4:5], v[10:11], v[10:11], v[0:1]
	v_fma_f64 v[0:1], v[10:11], v[10:11], -v[24:25]
	v_add_f64 v[0:1], v[8:9], v[0:1]
	v_mul_f64 v[29:30], v[0:1], v[4:5]
	v_mul_f64 v[0:1], v[0:1], -v[6:7]
	v_div_scale_f64 v[31:32], null, v[29:30], v[29:30], 1.0
	v_rcp_f64_e32 v[40:41], v[31:32]
	v_fma_f64 v[42:43], -v[31:32], v[40:41], 1.0
	v_fma_f64 v[40:41], v[40:41], v[42:43], v[40:41]
	v_fma_f64 v[42:43], -v[31:32], v[40:41], 1.0
	v_fma_f64 v[40:41], v[40:41], v[42:43], v[40:41]
	v_div_scale_f64 v[42:43], vcc_lo, 1.0, v[29:30], 1.0
	v_mul_f64 v[44:45], v[42:43], v[40:41]
	v_fma_f64 v[31:32], -v[31:32], v[44:45], v[42:43]
	v_div_fmas_f64 v[31:32], v[31:32], v[40:41], v[44:45]
	v_div_fixup_f64 v[29:30], v[31:32], v[29:30], 1.0
	v_div_scale_f64 v[31:32], null, v[4:5], v[4:5], 1.0
	v_rcp_f64_e32 v[40:41], v[31:32]
	v_fma_f64 v[42:43], -v[31:32], v[40:41], 1.0
	v_fma_f64 v[40:41], v[40:41], v[42:43], v[40:41]
	v_fma_f64 v[42:43], -v[31:32], v[40:41], 1.0
	v_fma_f64 v[40:41], v[40:41], v[42:43], v[40:41]
	v_div_scale_f64 v[42:43], vcc_lo, 1.0, v[4:5], 1.0
	v_mul_f64 v[44:45], v[42:43], v[40:41]
	v_fma_f64 v[31:32], -v[31:32], v[44:45], v[42:43]
	v_mul_f64 v[42:43], s[8:9], v[24:25]
	v_div_fmas_f64 v[31:32], v[31:32], v[40:41], v[44:45]
	v_div_fixup_f64 v[40:41], v[31:32], v[4:5], 1.0
	v_fma_f64 v[4:5], v[10:11], -2.0, v[4:5]
	v_mul_f64 v[32:33], v[0:1], v[40:41]
	v_mul_f64 v[4:5], v[88:89], v[4:5]
	v_mul_f64 v[0:1], v[40:41], -v[12:13]
	v_div_scale_f64 v[12:13], null, v[34:35], v[34:35], v[4:5]
	v_rcp_f64_e32 v[44:45], v[12:13]
	v_fma_f64 v[46:47], -v[12:13], v[44:45], 1.0
	v_fma_f64 v[44:45], v[44:45], v[46:47], v[44:45]
	v_fma_f64 v[46:47], -v[12:13], v[44:45], 1.0
	v_fma_f64 v[44:45], v[44:45], v[46:47], v[44:45]
	v_div_scale_f64 v[46:47], vcc_lo, v[4:5], v[34:35], v[4:5]
	v_mul_f64 v[48:49], v[46:47], v[44:45]
	v_fma_f64 v[12:13], -v[12:13], v[48:49], v[46:47]
	v_div_fmas_f64 v[12:13], v[12:13], v[44:45], v[48:49]
	v_div_fixup_f64 v[4:5], v[12:13], v[34:35], v[4:5]
	v_fma_f64 v[4:5], s[8:9], v[24:25], v[4:5]
	v_mul_f64 v[12:13], v[29:30], -v[4:5]
	v_fma_f64 v[4:5], v[10:11], v[10:11], v[8:9]
	v_add_f64 v[10:11], v[10:11], -1.0
	v_mul_f64 v[4:5], v[24:25], v[4:5]
	v_fma_f64 v[24:25], -v[88:89], v[42:43], v[4:5]
	v_fma_f64 v[4:5], -v[119:120], v[10:11], v[4:5]
	v_fma_f64 v[76:77], v[24:25], v[29:30], 1.0
	v_add_f64 v[24:25], v[6:7], v[6:7]
	v_add_f64 v[4:5], v[4:5], -v[90:91]
	v_mul_f64 v[6:7], v[6:7], v[24:25]
	v_mul_f64 v[6:7], v[10:11], v[6:7]
	v_mul_f64 v[6:7], v[6:7], v[40:41]
	v_fma_f64 v[10:11], v[4:5], v[29:30], -v[6:7]
	v_cndmask_b32_e64 v5, v15, 0x3e45798e, s0
	v_cndmask_b32_e64 v4, v14, 0xe2308c3a, s0
	s_mov_b32 s0, exec_lo
	v_mul_f64 v[2:3], -v[4:5], v[2:3]
	v_mul_f64 v[4:5], v[34:35], v[34:35]
	v_mul_f64 v[10:11], v[38:39], -v[10:11]
	v_div_scale_f64 v[6:7], null, v[4:5], v[4:5], v[58:59]
	v_fma_f64 v[34:35], v[10:11], s[82:83], v[106:107]
	v_rcp_f64_e32 v[14:15], v[6:7]
	v_fma_f64 v[24:25], -v[6:7], v[14:15], 1.0
	v_fma_f64 v[14:15], v[14:15], v[24:25], v[14:15]
	v_fma_f64 v[24:25], -v[6:7], v[14:15], 1.0
	v_fma_f64 v[14:15], v[14:15], v[24:25], v[14:15]
	v_div_scale_f64 v[24:25], vcc_lo, v[58:59], v[4:5], v[58:59]
	v_mul_f64 v[29:30], v[24:25], v[14:15]
	v_fma_f64 v[6:7], -v[6:7], v[29:30], v[24:25]
	v_div_fmas_f64 v[6:7], v[6:7], v[14:15], v[29:30]
	v_mul_f64 v[14:15], v[38:39], v[32:33]
	v_mul_f64 v[32:33], v[38:39], v[0:1]
	;; [unrolled: 1-line block ×3, first 2 shown]
	v_div_fixup_f64 v[4:5], v[6:7], v[4:5], v[58:59]
	v_mul_f64 v[6:7], v[38:39], -v[76:77]
	v_fma_f64 v[24:25], v[32:33], s[82:83], v[27:28]
	v_add_f64 v[4:5], v[4:5], -v[8:9]
	v_fma_f64 v[76:77], v[6:7], s[82:83], v[104:105]
	v_mul_f64 v[2:3], v[4:5], v[2:3]
	v_fma_f64 v[4:5], v[14:15], s[82:83], v[100:101]
	v_mul_f64 v[2:3], v[2:3], v[40:41]
	;; [unrolled: 2-line block ×3, first 2 shown]
	s_waitcnt vmcnt(0)
	v_div_scale_f64 v[2:3], null, v[16:17], v[16:17], v[4:5]
	v_fma_f64 v[27:28], v[12:13], s[82:83], v[108:109]
	v_rcp_f64_e32 v[29:30], v[2:3]
	v_fma_f64 v[42:43], -v[2:3], v[29:30], 1.0
	v_fma_f64 v[29:30], v[29:30], v[42:43], v[29:30]
	v_fma_f64 v[42:43], -v[2:3], v[29:30], 1.0
	v_fma_f64 v[29:30], v[29:30], v[42:43], v[29:30]
	v_div_scale_f64 v[42:43], vcc_lo, v[4:5], v[16:17], v[4:5]
	v_mul_f64 v[44:45], v[42:43], v[29:30]
	v_fma_f64 v[2:3], -v[2:3], v[44:45], v[42:43]
	v_div_fmas_f64 v[2:3], v[2:3], v[29:30], v[44:45]
	v_div_fixup_f64 v[2:3], v[2:3], v[16:17], v[4:5]
	s_clause 0x1
	buffer_load_dword v16, off, s[100:103], 0 offset:88
	buffer_load_dword v17, off, s[100:103], 0 offset:92
	v_max_f64 v[2:3], |v[2:3]|, 0
	s_waitcnt vmcnt(0)
	v_div_scale_f64 v[4:5], null, v[16:17], v[16:17], v[24:25]
	v_rcp_f64_e32 v[29:30], v[4:5]
	v_fma_f64 v[42:43], -v[4:5], v[29:30], 1.0
	v_fma_f64 v[29:30], v[29:30], v[42:43], v[29:30]
	v_fma_f64 v[42:43], -v[4:5], v[29:30], 1.0
	v_fma_f64 v[29:30], v[29:30], v[42:43], v[29:30]
	v_div_scale_f64 v[42:43], vcc_lo, v[24:25], v[16:17], v[24:25]
	v_mul_f64 v[44:45], v[42:43], v[29:30]
	v_fma_f64 v[4:5], -v[4:5], v[44:45], v[42:43]
	v_div_fmas_f64 v[4:5], v[4:5], v[29:30], v[44:45]
	v_div_fixup_f64 v[4:5], v[4:5], v[16:17], v[24:25]
	s_clause 0x1
	buffer_load_dword v16, off, s[100:103], 0 offset:96
	buffer_load_dword v17, off, s[100:103], 0 offset:100
	v_cmp_gt_f64_e64 vcc_lo, |v[4:5]|, v[2:3]
	v_and_b32_e32 v24, 0x7fffffff, v5
	v_cndmask_b32_e32 v2, v2, v4, vcc_lo
	v_cndmask_b32_e32 v3, v3, v24, vcc_lo
	s_waitcnt vmcnt(0)
	v_div_scale_f64 v[4:5], null, v[16:17], v[16:17], v[40:41]
	v_rcp_f64_e32 v[24:25], v[4:5]
	v_fma_f64 v[29:30], -v[4:5], v[24:25], 1.0
	v_fma_f64 v[24:25], v[24:25], v[29:30], v[24:25]
	v_fma_f64 v[29:30], -v[4:5], v[24:25], 1.0
	v_fma_f64 v[24:25], v[24:25], v[29:30], v[24:25]
	v_div_scale_f64 v[29:30], vcc_lo, v[40:41], v[16:17], v[40:41]
	v_mul_f64 v[42:43], v[29:30], v[24:25]
	v_fma_f64 v[4:5], -v[4:5], v[42:43], v[29:30]
	v_div_fmas_f64 v[4:5], v[4:5], v[24:25], v[42:43]
	v_div_fixup_f64 v[4:5], v[4:5], v[16:17], v[40:41]
	s_clause 0x1
	buffer_load_dword v16, off, s[100:103], 0 offset:104
	buffer_load_dword v17, off, s[100:103], 0 offset:108
	v_cmp_gt_f64_e64 vcc_lo, |v[4:5]|, v[2:3]
	v_and_b32_e32 v24, 0x7fffffff, v5
	v_cndmask_b32_e32 v2, v2, v4, vcc_lo
	v_cndmask_b32_e32 v3, v3, v24, vcc_lo
	s_waitcnt vmcnt(0)
	v_div_scale_f64 v[4:5], null, v[16:17], v[16:17], v[76:77]
	v_rcp_f64_e32 v[24:25], v[4:5]
	v_fma_f64 v[29:30], -v[4:5], v[24:25], 1.0
	v_fma_f64 v[24:25], v[24:25], v[29:30], v[24:25]
	v_fma_f64 v[29:30], -v[4:5], v[24:25], 1.0
	v_fma_f64 v[24:25], v[24:25], v[29:30], v[24:25]
	v_div_scale_f64 v[29:30], vcc_lo, v[76:77], v[16:17], v[76:77]
	v_mul_f64 v[40:41], v[29:30], v[24:25]
	v_fma_f64 v[4:5], -v[4:5], v[40:41], v[29:30]
	v_div_fmas_f64 v[4:5], v[4:5], v[24:25], v[40:41]
	v_div_fixup_f64 v[4:5], v[4:5], v[16:17], v[76:77]
	s_clause 0x1
	buffer_load_dword v16, off, s[100:103], 0 offset:112
	buffer_load_dword v17, off, s[100:103], 0 offset:116
                                        ; implicit-def: $vgpr76_vgpr77
	v_cmp_gt_f64_e64 vcc_lo, |v[4:5]|, v[2:3]
	v_and_b32_e32 v24, 0x7fffffff, v5
	v_cndmask_b32_e32 v2, v2, v4, vcc_lo
	v_cndmask_b32_e32 v3, v3, v24, vcc_lo
	s_waitcnt vmcnt(0)
	v_div_scale_f64 v[4:5], null, v[16:17], v[16:17], v[34:35]
	v_rcp_f64_e32 v[24:25], v[4:5]
	v_fma_f64 v[29:30], -v[4:5], v[24:25], 1.0
	v_fma_f64 v[24:25], v[24:25], v[29:30], v[24:25]
	v_fma_f64 v[29:30], -v[4:5], v[24:25], 1.0
	v_fma_f64 v[24:25], v[24:25], v[29:30], v[24:25]
	v_div_scale_f64 v[29:30], vcc_lo, v[34:35], v[16:17], v[34:35]
	v_mul_f64 v[40:41], v[29:30], v[24:25]
	v_fma_f64 v[4:5], -v[4:5], v[40:41], v[29:30]
	v_div_fmas_f64 v[4:5], v[4:5], v[24:25], v[40:41]
	v_div_fixup_f64 v[4:5], v[4:5], v[16:17], v[34:35]
	s_clause 0x1
	buffer_load_dword v16, off, s[100:103], 0 offset:120
	buffer_load_dword v17, off, s[100:103], 0 offset:124
	v_cmp_gt_f64_e64 vcc_lo, |v[4:5]|, v[2:3]
	v_and_b32_e32 v24, 0x7fffffff, v5
	v_cndmask_b32_e32 v2, v2, v4, vcc_lo
	v_cndmask_b32_e32 v3, v3, v24, vcc_lo
	s_waitcnt vmcnt(0)
	v_div_scale_f64 v[4:5], null, v[16:17], v[16:17], v[27:28]
	v_rcp_f64_e32 v[24:25], v[4:5]
	v_fma_f64 v[29:30], -v[4:5], v[24:25], 1.0
	v_fma_f64 v[24:25], v[24:25], v[29:30], v[24:25]
	v_fma_f64 v[29:30], -v[4:5], v[24:25], 1.0
	v_fma_f64 v[24:25], v[24:25], v[29:30], v[24:25]
	v_div_scale_f64 v[29:30], vcc_lo, v[27:28], v[16:17], v[27:28]
	v_mul_f64 v[34:35], v[29:30], v[24:25]
	v_fma_f64 v[4:5], -v[4:5], v[34:35], v[29:30]
	v_div_fmas_f64 v[4:5], v[4:5], v[24:25], v[34:35]
	v_div_fixup_f64 v[4:5], v[4:5], v[16:17], v[27:28]
	v_cmp_gt_f64_e64 vcc_lo, |v[4:5]|, v[2:3]
	v_and_b32_e32 v24, 0x7fffffff, v5
	v_cndmask_b32_e32 v3, v3, v24, vcc_lo
	v_cndmask_b32_e32 v2, v2, v4, vcc_lo
	v_mul_f64 v[27:28], v[2:3], s[84:85]
	v_cmpx_nge_f64_e32 1.0, v[27:28]
	s_cbranch_execz .LBB0_89
; %bb.131:                              ;   in Loop: Header=BB0_90 Depth=2
	v_cmp_gt_f64_e32 vcc_lo, 0x10000000, v[27:28]
	s_mov_b32 s54, s42
	s_mov_b32 s52, s36
	v_mul_f64 v[2:3], v[38:39], s[54:55]
	v_mul_f64 v[76:77], v[38:39], s[52:53]
	s_mov_b32 s1, exec_lo
	v_cndmask_b32_e64 v4, 0, 0x100, vcc_lo
	v_ldexp_f64 v[4:5], v[27:28], v4
	v_rsq_f64_e32 v[24:25], v[4:5]
	v_mul_f64 v[29:30], v[4:5], v[24:25]
	v_mul_f64 v[24:25], v[24:25], 0.5
	v_fma_f64 v[34:35], -v[24:25], v[29:30], 0.5
	v_fma_f64 v[29:30], v[29:30], v[34:35], v[29:30]
	v_fma_f64 v[24:25], v[24:25], v[34:35], v[24:25]
	v_fma_f64 v[40:41], -v[29:30], v[29:30], v[4:5]
	v_fma_f64 v[29:30], v[40:41], v[24:25], v[29:30]
	v_fma_f64 v[34:35], -v[29:30], v[29:30], v[4:5]
	v_fma_f64 v[24:25], v[34:35], v[24:25], v[29:30]
	v_cndmask_b32_e64 v29, 0, 0xffffff80, vcc_lo
	v_cmp_class_f64_e64 vcc_lo, v[4:5], 0x260
	v_ldexp_f64 v[24:25], v[24:25], v29
	v_cndmask_b32_e32 v5, v25, v5, vcc_lo
	v_cndmask_b32_e32 v4, v24, v4, vcc_lo
	v_cmp_gt_f64_e32 vcc_lo, 0x10000000, v[4:5]
	v_cndmask_b32_e64 v24, 0, 0x100, vcc_lo
	v_ldexp_f64 v[4:5], v[4:5], v24
	v_rsq_f64_e32 v[24:25], v[4:5]
	v_mul_f64 v[29:30], v[4:5], v[24:25]
	v_mul_f64 v[24:25], v[24:25], 0.5
	v_fma_f64 v[34:35], -v[24:25], v[29:30], 0.5
	v_fma_f64 v[29:30], v[29:30], v[34:35], v[29:30]
	v_fma_f64 v[24:25], v[24:25], v[34:35], v[24:25]
	v_fma_f64 v[40:41], -v[29:30], v[29:30], v[4:5]
	v_fma_f64 v[29:30], v[40:41], v[24:25], v[29:30]
	v_fma_f64 v[34:35], -v[29:30], v[29:30], v[4:5]
	v_fma_f64 v[24:25], v[34:35], v[24:25], v[29:30]
	v_cndmask_b32_e64 v29, 0, 0xffffff80, vcc_lo
	v_cmp_class_f64_e64 vcc_lo, v[4:5], 0x260
	v_ldexp_f64 v[24:25], v[24:25], v29
	v_cndmask_b32_e32 v5, v25, v5, vcc_lo
	v_cndmask_b32_e32 v4, v24, v4, vcc_lo
	v_div_scale_f64 v[24:25], null, v[4:5], v[4:5], v[2:3]
	v_rcp_f64_e32 v[29:30], v[24:25]
	v_fma_f64 v[34:35], -v[24:25], v[29:30], 1.0
	v_fma_f64 v[29:30], v[29:30], v[34:35], v[29:30]
	v_fma_f64 v[34:35], -v[24:25], v[29:30], 1.0
	v_fma_f64 v[29:30], v[29:30], v[34:35], v[29:30]
	v_div_scale_f64 v[34:35], vcc_lo, v[2:3], v[4:5], v[2:3]
	v_mul_f64 v[40:41], v[34:35], v[29:30]
	v_fma_f64 v[24:25], -v[24:25], v[40:41], v[34:35]
	v_div_fmas_f64 v[24:25], v[24:25], v[29:30], v[40:41]
	v_div_fixup_f64 v[34:35], v[24:25], v[4:5], v[2:3]
	v_cmpx_le_f64_e32 0, v[76:77]
	s_xor_b32 s1, exec_lo, s1
	s_cbranch_execz .LBB0_135
; %bb.132:                              ;   in Loop: Header=BB0_90 Depth=2
	s_mov_b32 s2, exec_lo
	v_cmpx_gt_f64_e32 v[34:35], v[76:77]
	s_xor_b32 s2, exec_lo, s2
; %bb.133:                              ;   in Loop: Header=BB0_90 Depth=2
	v_mov_b32_e32 v77, v35
	v_mov_b32_e32 v76, v34
; %bb.134:                              ;   in Loop: Header=BB0_90 Depth=2
	s_or_b32 exec_lo, exec_lo, s2
                                        ; implicit-def: $vgpr34_vgpr35
.LBB0_135:                              ;   in Loop: Header=BB0_90 Depth=2
	s_andn2_saveexec_b32 s1, s1
	s_cbranch_execz .LBB0_88
; %bb.136:                              ;   in Loop: Header=BB0_90 Depth=2
	s_mov_b32 s2, exec_lo
	v_cmpx_lt_f64_e32 v[34:35], v[76:77]
	s_xor_b32 s2, exec_lo, s2
	s_cbranch_execz .LBB0_87
; %bb.137:                              ;   in Loop: Header=BB0_90 Depth=2
	v_mov_b32_e32 v77, v35
	v_mov_b32_e32 v76, v34
	s_branch .LBB0_87
.LBB0_138:                              ;   in Loop: Header=BB0_78 Depth=1
	s_or_b32 exec_lo, exec_lo, s31
	s_mov_b32 s0, 0xa34ca0c3
	s_mov_b32 s1, 0x3f28c5c9
                                        ; implicit-def: $vgpr76_vgpr77
	v_cmp_nlt_f64_e32 vcc_lo, s[0:1], v[27:28]
	s_and_saveexec_b32 s0, vcc_lo
	s_xor_b32 s0, exec_lo, s0
; %bb.139:                              ;   in Loop: Header=BB0_78 Depth=1
	v_mul_f64 v[76:77], 0x40140000, v[38:39]
; %bb.140:                              ;   in Loop: Header=BB0_78 Depth=1
	s_andn2_saveexec_b32 s2, s0
	s_cbranch_execz .LBB0_142
; %bb.141:                              ;   in Loop: Header=BB0_78 Depth=1
	v_frexp_mant_f64_e32 v[2:3], v[27:28]
	v_readlane_b32 s0, v127, 0
	v_readlane_b32 s1, v127, 1
	s_mov_b32 s0, s16
	s_mov_b32 s91, s81
	;; [unrolled: 1-line block ×7, first 2 shown]
	v_frexp_exp_i32_f64_e32 v31, v[27:28]
	s_mov_b32 s54, s42
	v_cmp_gt_f64_e32 vcc_lo, s[0:1], v[2:3]
	v_cndmask_b32_e64 v4, 0, 1, vcc_lo
	v_subrev_co_ci_u32_e64 v31, null, 0, v31, vcc_lo
	v_cmp_eq_f64_e32 vcc_lo, 1.0, v[27:28]
	v_ldexp_f64 v[2:3], v[2:3], v4
	v_add_f64 v[4:5], v[2:3], 1.0
	v_add_f64 v[34:35], v[2:3], -1.0
	v_rcp_f64_e32 v[24:25], v[4:5]
	v_add_f64 v[40:41], v[4:5], -1.0
	v_add_f64 v[2:3], v[2:3], -v[40:41]
	v_fma_f64 v[29:30], -v[4:5], v[24:25], 1.0
	v_fma_f64 v[24:25], v[29:30], v[24:25], v[24:25]
	v_fma_f64 v[29:30], -v[4:5], v[24:25], 1.0
	v_fma_f64 v[24:25], v[29:30], v[24:25], v[24:25]
	v_mul_f64 v[29:30], v[34:35], v[24:25]
	v_mul_f64 v[42:43], v[4:5], v[29:30]
	v_fma_f64 v[4:5], v[29:30], v[4:5], -v[42:43]
	v_fma_f64 v[2:3], v[29:30], v[2:3], v[4:5]
	v_add_f64 v[4:5], v[42:43], v[2:3]
	v_add_f64 v[40:41], v[34:35], -v[4:5]
	v_add_f64 v[42:43], v[4:5], -v[42:43]
	;; [unrolled: 1-line block ×5, first 2 shown]
	v_add_f64 v[2:3], v[2:3], v[4:5]
	v_add_f64 v[2:3], v[40:41], v[2:3]
	v_mul_f64 v[2:3], v[24:25], v[2:3]
	v_add_f64 v[4:5], v[29:30], v[2:3]
	v_add_f64 v[24:25], v[4:5], -v[29:30]
	v_mul_f64 v[29:30], v[4:5], v[4:5]
	v_add_f64 v[2:3], v[2:3], -v[24:25]
	v_fma_f64 v[24:25], v[4:5], v[4:5], -v[29:30]
	v_add_f64 v[34:35], v[2:3], v[2:3]
	v_fma_f64 v[24:25], v[4:5], v[34:35], v[24:25]
	v_add_f64 v[34:35], v[29:30], v[24:25]
	v_fma_f64 v[40:41], v[34:35], s[34:35], s[80:81]
	s_mov_b32 s34, 0x3abe935a
	s_mov_b32 s35, 0x3fbe25e4
	v_add_f64 v[29:30], v[34:35], -v[29:30]
	v_mul_f64 v[46:47], v[4:5], v[34:35]
	v_readlane_b32 s80, v127, 2
	v_readlane_b32 s81, v127, 3
	s_mov_b32 s80, s16
	v_writelane_b32 v127, s30, 0
	v_writelane_b32 v127, s31, 1
	v_fma_f64 v[40:41], v[34:35], v[40:41], s[34:35]
	s_mov_b32 s34, 0x47e6c9c2
	s_mov_b32 s35, 0x3fc110ef
	v_add_f64 v[24:25], v[24:25], -v[29:30]
	v_fma_f64 v[40:41], v[34:35], v[40:41], s[34:35]
	s_mov_b32 s34, 0xcfa74449
	s_mov_b32 s35, 0x3fc3b13b
	v_fma_f64 v[40:41], v[34:35], v[40:41], s[34:35]
	s_mov_b32 s34, 0x71bf3c30
	s_mov_b32 s35, 0x3fc745d1
	;; [unrolled: 3-line block ×6, first 2 shown]
	v_mul_f64 v[42:43], v[34:35], v[40:41]
	v_fma_f64 v[29:30], v[34:35], v[40:41], -v[42:43]
	v_fma_f64 v[29:30], v[24:25], v[40:41], v[29:30]
	v_add_f64 v[40:41], v[42:43], v[29:30]
	v_add_f64 v[44:45], v[40:41], s[0:1]
	v_add_f64 v[42:43], v[40:41], -v[42:43]
	s_mov_b32 s1, s81
	v_writelane_b32 v127, s0, 2
	v_writelane_b32 v127, s1, 3
	s_mov_b32 s0, 0xd5df274d
	s_mov_b32 s1, 0x3c8543b0
	v_add_f64 v[48:49], v[44:45], s[80:81]
	v_add_f64 v[29:30], v[29:30], -v[42:43]
	v_fma_f64 v[42:43], v[34:35], v[4:5], -v[46:47]
	s_mov_b32 s80, 0x652b82fe
	s_mov_b32 s81, 0x3ff71547
	v_add_f64 v[40:41], v[40:41], -v[48:49]
	v_add_f64 v[29:30], v[29:30], s[0:1]
	v_fma_f64 v[34:35], v[34:35], v[2:3], v[42:43]
	s_mov_b32 s0, 0xfefa39ef
	s_mov_b32 s1, 0x3fe62e42
	v_ldexp_f64 v[2:3], v[2:3], 1
	v_add_f64 v[29:30], v[29:30], v[40:41]
	v_fma_f64 v[24:25], v[24:25], v[4:5], v[34:35]
	v_ldexp_f64 v[4:5], v[4:5], 1
	v_add_f64 v[34:35], v[44:45], v[29:30]
	v_add_f64 v[40:41], v[46:47], v[24:25]
	v_add_f64 v[42:43], v[44:45], -v[34:35]
	v_mul_f64 v[44:45], v[40:41], v[34:35]
	v_add_f64 v[46:47], v[40:41], -v[46:47]
	v_add_f64 v[29:30], v[29:30], v[42:43]
	v_fma_f64 v[42:43], v[40:41], v[34:35], -v[44:45]
	v_add_f64 v[24:25], v[24:25], -v[46:47]
	v_fma_f64 v[29:30], v[40:41], v[29:30], v[42:43]
	v_fma_f64 v[24:25], v[24:25], v[34:35], v[29:30]
	v_cvt_f64_i32_e32 v[34:35], v31
	v_add_f64 v[29:30], v[44:45], v[24:25]
	v_add_f64 v[40:41], v[4:5], v[29:30]
	v_add_f64 v[42:43], v[29:30], -v[44:45]
	v_mul_f64 v[44:45], v[34:35], s[0:1]
	v_add_f64 v[4:5], v[40:41], -v[4:5]
	v_add_f64 v[24:25], v[24:25], -v[42:43]
	v_fma_f64 v[42:43], v[34:35], s[0:1], -v[44:45]
	v_add_f64 v[4:5], v[29:30], -v[4:5]
	v_add_f64 v[2:3], v[2:3], v[24:25]
	v_fma_f64 v[24:25], v[34:35], s[34:35], v[42:43]
	v_add_f64 v[2:3], v[2:3], v[4:5]
	v_add_f64 v[4:5], v[44:45], v[24:25]
	;; [unrolled: 1-line block ×3, first 2 shown]
	v_add_f64 v[44:45], v[4:5], -v[44:45]
	v_add_f64 v[34:35], v[4:5], v[29:30]
	v_add_f64 v[40:41], v[29:30], -v[40:41]
	v_add_f64 v[24:25], v[24:25], -v[44:45]
	;; [unrolled: 1-line block ×6, first 2 shown]
	v_add_f64 v[40:41], v[24:25], v[2:3]
	v_add_f64 v[4:5], v[4:5], -v[46:47]
	v_add_f64 v[4:5], v[29:30], v[4:5]
	v_add_f64 v[29:30], v[40:41], -v[24:25]
	;; [unrolled: 2-line block ×3, first 2 shown]
	v_add_f64 v[2:3], v[2:3], -v[29:30]
	v_add_f64 v[42:43], v[34:35], v[4:5]
	v_add_f64 v[24:25], v[24:25], -v[40:41]
	v_add_f64 v[29:30], v[42:43], -v[34:35]
	v_add_f64 v[2:3], v[2:3], v[24:25]
	v_mov_b32_e32 v24, 0x3ff00000
	v_cndmask_b32_e32 v25, 0xbfc99999, v24, vcc_lo
	v_cndmask_b32_e64 v24, 0x9999999a, 0, vcc_lo
	v_add_f64 v[4:5], v[4:5], -v[29:30]
	v_add_f64 v[2:3], v[2:3], v[4:5]
	v_add_f64 v[4:5], v[42:43], v[2:3]
	v_add_f64 v[27:28], v[4:5], -v[42:43]
	v_mul_f64 v[29:30], v[24:25], v[4:5]
	v_add_f64 v[2:3], v[2:3], -v[27:28]
	v_fma_f64 v[4:5], v[24:25], v[4:5], -v[29:30]
	v_cmp_class_f64_e64 vcc_lo, v[29:30], 0x204
	v_fma_f64 v[2:3], v[24:25], v[2:3], v[4:5]
	v_add_f64 v[4:5], v[29:30], v[2:3]
	v_cndmask_b32_e32 v25, v5, v30, vcc_lo
	v_cndmask_b32_e32 v24, v4, v29, vcc_lo
	v_add_f64 v[4:5], v[4:5], -v[29:30]
	v_mul_f64 v[27:28], v[24:25], s[80:81]
	s_mov_b32 s81, s91
	s_mov_b32 s80, s0
	v_readlane_b32 s0, v127, 4
	v_readlane_b32 s1, v127, 5
	v_cmp_neq_f64_e64 vcc_lo, 0x7ff00000, |v[24:25]|
	s_mov_b32 s35, s1
	v_writelane_b32 v127, s0, 4
	v_writelane_b32 v127, s1, 5
	s_mov_b32 s0, 0xfca7ab0c
	s_mov_b32 s1, 0x3e928af3
	v_add_f64 v[2:3], v[2:3], -v[4:5]
	v_rndne_f64_e32 v[27:28], v[27:28]
	v_cndmask_b32_e32 v3, 0, v3, vcc_lo
	v_cndmask_b32_e32 v2, 0, v2, vcc_lo
	v_fma_f64 v[34:35], v[27:28], s[80:81], v[24:25]
	v_cvt_i32_f64_e32 v31, v[27:28]
	v_fma_f64 v[34:35], v[27:28], s[34:35], v[34:35]
	s_mov_b32 s34, 0x6a5dcb37
	s_mov_b32 s35, 0x3e5ade15
	v_fma_f64 v[40:41], v[34:35], s[34:35], s[0:1]
	s_mov_b32 s0, 0x623fde64
	s_mov_b32 s1, 0x3ec71dee
	;; [unrolled: 1-line block ×4, first 2 shown]
	v_fma_f64 v[40:41], v[34:35], v[40:41], s[0:1]
	s_mov_b32 s0, 0x7c89e6b0
	s_mov_b32 s1, 0x3efa0199
	v_fma_f64 v[40:41], v[34:35], v[40:41], s[0:1]
	s_mov_b32 s0, 0x14761f6e
	s_mov_b32 s1, 0x3f2a01a0
	;; [unrolled: 3-line block ×3, first 2 shown]
	v_fma_f64 v[40:41], v[34:35], v[40:41], s[0:1]
	v_readlane_b32 s0, v127, 6
	v_readlane_b32 s1, v127, 7
	s_mov_b32 s1, s27
	s_mov_b32 s28, s0
	v_writelane_b32 v127, s28, 6
	v_writelane_b32 v127, s29, 7
	v_fma_f64 v[40:41], v[34:35], v[40:41], s[0:1]
	v_readlane_b32 s0, v127, 8
	v_readlane_b32 s1, v127, 9
	s_mov_b32 s1, s17
	s_mov_b32 s28, s0
	v_writelane_b32 v127, s28, 8
	v_writelane_b32 v127, s29, 9
	v_fma_f64 v[40:41], v[34:35], v[40:41], s[0:1]
	s_mov_b32 s0, 0x55555511
	s_mov_b32 s1, 0x3fc55555
	v_fma_f64 v[40:41], v[34:35], v[40:41], s[0:1]
	s_mov_b32 s0, 11
	s_mov_b32 s1, 0x3fe00000
	v_fma_f64 v[40:41], v[34:35], v[40:41], s[0:1]
	v_cmp_nlt_f64_e64 s0, 0x40900000, v[24:25]
	v_cmp_ngt_f64_e64 s1, 0xc090cc00, v[24:25]
	v_mul_f64 v[24:25], v[38:39], s[54:55]
	v_fma_f64 v[40:41], v[34:35], v[40:41], 1.0
	s_and_b32 vcc_lo, s1, s0
	v_fma_f64 v[27:28], v[34:35], v[40:41], 1.0
	v_ldexp_f64 v[27:28], v[27:28], v31
	v_cndmask_b32_e64 v4, 0x7ff00000, v28, s0
	v_cndmask_b32_e64 v5, 0, v4, s1
	v_cndmask_b32_e32 v4, 0, v27, vcc_lo
	v_fma_f64 v[2:3], v[4:5], v[2:3], v[4:5]
	v_cmp_class_f64_e64 vcc_lo, v[4:5], 0x204
	v_cndmask_b32_e32 v3, v3, v5, vcc_lo
	v_cndmask_b32_e32 v2, v2, v4, vcc_lo
	v_mul_f64 v[76:77], v[24:25], |v[2:3]|
.LBB0_142:                              ;   in Loop: Header=BB0_78 Depth=1
	s_or_b32 exec_lo, exec_lo, s2
	s_clause 0x1
	buffer_load_dword v18, off, s[100:103], 0
	buffer_load_dword v19, off, s[100:103], 0 offset:4
	s_mov_b32 s0, 0x43b990ee
	s_mov_b32 s1, 0x3fb90ee6
	v_fma_f64 v[2:3], v[62:63], s[0:1], v[54:55]
	v_fma_f64 v[2:3], v[70:71], s[62:63], v[2:3]
	v_fma_f64 v[2:3], v[82:83], s[64:65], v[2:3]
	v_fma_f64 v[54:55], v[14:15], s[78:79], v[2:3]
	v_cmp_gt_f64_e32 vcc_lo, 0x40490000, v[54:55]
	s_waitcnt vmcnt(0)
	v_fma_f64 v[4:5], v[36:37], s[0:1], v[18:19]
	v_fma_f64 v[4:5], v[66:67], s[62:63], v[4:5]
	;; [unrolled: 1-line block ×3, first 2 shown]
	s_clause 0x1
	buffer_load_dword v4, off, s[100:103], 0 offset:160
	buffer_load_dword v5, off, s[100:103], 0 offset:164
	v_fma_f64 v[14:15], v[32:33], s[78:79], v[2:3]
	s_waitcnt vmcnt(0)
	v_cmp_gt_f64_e64 s0, v[54:55], v[4:5]
	s_and_b32 s1, vcc_lo, s0
	s_xor_b32 s2, s1, -1
	s_and_saveexec_b32 s0, s1
	s_cbranch_execz .LBB0_144
; %bb.143:                              ;   in Loop: Header=BB0_78 Depth=1
	v_readlane_b32 s86, v127, 10
	v_readlane_b32 s87, v127, 11
	s_mov_b32 s87, s57
	s_andn2_b32 s1, s2, exec_lo
	v_add_f64 v[2:3], v[18:19], s[86:87]
	v_add_f64 v[4:5], v[14:15], s[86:87]
	s_mov_b32 s28, s86
	v_writelane_b32 v127, s28, 10
	v_writelane_b32 v127, s29, 11
	v_mul_f64 v[2:3], v[4:5], v[2:3]
	v_cmp_ngt_f64_e32 vcc_lo, 0, v[2:3]
	s_and_b32 s2, vcc_lo, exec_lo
	s_or_b32 s2, s1, s2
.LBB0_144:                              ;   in Loop: Header=BB0_78 Depth=1
	s_or_b32 exec_lo, exec_lo, s0
	s_mov_b32 s0, -1
	s_or_b32 s104, s104, exec_lo
	s_and_saveexec_b32 s1, s2
	s_cbranch_execz .LBB0_77
; %bb.145:                              ;   in Loop: Header=BB0_78 Depth=1
	s_clause 0x1
	buffer_load_dword v2, off, s[100:103], 0 offset:24
	buffer_load_dword v3, off, s[100:103], 0 offset:28
	v_cmp_lt_f64_e32 vcc_lo, 0x408f4000, v[54:55]
	s_andn2_b32 s104, s104, exec_lo
	s_waitcnt vmcnt(0)
	v_cmp_lt_f64_e64 s0, 0, v[2:3]
	s_clause 0x1
	buffer_load_dword v2, off, s[100:103], 0 offset:168
	buffer_load_dword v3, off, s[100:103], 0 offset:172
	s_and_b32 s0, vcc_lo, s0
	s_waitcnt vmcnt(0)
	v_cmp_lt_f64_e32 vcc_lo, v[54:55], v[2:3]
	s_or_b32 s0, vcc_lo, s0
	s_orn2_b32 s0, s0, exec_lo
	s_branch .LBB0_77
.LBB0_146:
	s_or_b32 exec_lo, exec_lo, s33
	s_and_saveexec_b32 s0, s30
	s_xor_b32 s0, exec_lo, s0
	s_cbranch_execz .LBB0_148
; %bb.147:
	v_cmp_gt_f64_e32 vcc_lo, 0x10000000, v[54:55]
	v_cndmask_b32_e64 v0, 0, 0x100, vcc_lo
	v_ldexp_f64 v[0:1], v[54:55], v0
	v_rsq_f64_e32 v[2:3], v[0:1]
	v_mul_f64 v[4:5], v[0:1], v[2:3]
	v_mul_f64 v[2:3], v[2:3], 0.5
	v_fma_f64 v[6:7], -v[2:3], v[4:5], 0.5
	v_fma_f64 v[4:5], v[4:5], v[6:7], v[4:5]
	v_fma_f64 v[2:3], v[2:3], v[6:7], v[2:3]
	v_fma_f64 v[6:7], -v[4:5], v[4:5], v[0:1]
	v_fma_f64 v[4:5], v[6:7], v[2:3], v[4:5]
	v_fma_f64 v[6:7], -v[4:5], v[4:5], v[0:1]
	v_fma_f64 v[2:3], v[6:7], v[2:3], v[4:5]
	v_cndmask_b32_e64 v6, 0, 0xffffff80, vcc_lo
	v_cmp_class_f64_e64 vcc_lo, v[0:1], 0x260
	v_mul_f64 v[4:5], v[54:55], v[54:55]
	v_ldexp_f64 v[2:3], v[2:3], v6
	v_fma_f64 v[6:7], 0xc0080000, v[54:55], v[4:5]
	v_cndmask_b32_e32 v1, v3, v1, vcc_lo
	v_cndmask_b32_e32 v0, v2, v0, vcc_lo
	s_clause 0x3
	buffer_load_dword v2, off, s[100:103], 0 offset:176
	buffer_load_dword v3, off, s[100:103], 0 offset:180
	;; [unrolled: 1-line block ×4, first 2 shown]
	s_waitcnt vmcnt(2)
	v_fma_f64 v[2:3], v[2:3], v[0:1], v[6:7]
	s_waitcnt vmcnt(0)
	v_div_scale_f64 v[8:9], null, v[0:1], v[0:1], v[16:17]
	v_cmp_gt_f64_e32 vcc_lo, 0x10000000, v[2:3]
	v_rcp_f64_e32 v[12:13], v[8:9]
	v_cndmask_b32_e64 v6, 0, 0x100, vcc_lo
	v_fma_f64 v[18:19], -v[8:9], v[12:13], 1.0
	v_ldexp_f64 v[2:3], v[2:3], v6
	v_fma_f64 v[12:13], v[12:13], v[18:19], v[12:13]
	v_rsq_f64_e32 v[6:7], v[2:3]
	v_cmp_class_f64_e64 s1, v[2:3], 0x260
	v_fma_f64 v[18:19], -v[8:9], v[12:13], 1.0
	v_mul_f64 v[10:11], v[2:3], v[6:7]
	v_mul_f64 v[6:7], v[6:7], 0.5
	v_fma_f64 v[12:13], v[12:13], v[18:19], v[12:13]
	v_fma_f64 v[14:15], -v[6:7], v[10:11], 0.5
	v_fma_f64 v[10:11], v[10:11], v[14:15], v[10:11]
	v_fma_f64 v[6:7], v[6:7], v[14:15], v[6:7]
	v_fma_f64 v[14:15], -v[10:11], v[10:11], v[2:3]
	v_fma_f64 v[10:11], v[14:15], v[6:7], v[10:11]
	v_div_scale_f64 v[14:15], s0, v[16:17], v[0:1], v[16:17]
	v_fma_f64 v[18:19], -v[10:11], v[10:11], v[2:3]
	v_mul_f64 v[20:21], v[14:15], v[12:13]
	v_fma_f64 v[6:7], v[18:19], v[6:7], v[10:11]
	v_fma_f64 v[8:9], -v[8:9], v[20:21], v[14:15]
	v_cndmask_b32_e64 v10, 0, 0xffffff80, vcc_lo
	s_mov_b32 vcc_lo, s0
	v_ldexp_f64 v[6:7], v[6:7], v10
	v_div_fmas_f64 v[8:9], v[8:9], v[12:13], v[20:21]
	v_cndmask_b32_e64 v3, v7, v3, s1
	v_cndmask_b32_e64 v2, v6, v2, s1
	v_div_fixup_f64 v[6:7], v[8:9], v[0:1], v[16:17]
	v_fma_f64 v[0:1], s[8:9], v[0:1], v[4:5]
	v_mul_f64 v[4:5], v[54:55], v[2:3]
	v_div_scale_f64 v[8:9], null, v[2:3], v[2:3], v[6:7]
	v_div_scale_f64 v[20:21], vcc_lo, v[6:7], v[2:3], v[6:7]
	v_div_scale_f64 v[10:11], null, v[4:5], v[4:5], v[0:1]
	v_rcp_f64_e32 v[12:13], v[8:9]
	v_rcp_f64_e32 v[14:15], v[10:11]
	v_fma_f64 v[16:17], -v[8:9], v[12:13], 1.0
	v_fma_f64 v[18:19], -v[10:11], v[14:15], 1.0
	v_fma_f64 v[12:13], v[12:13], v[16:17], v[12:13]
	v_fma_f64 v[14:15], v[14:15], v[18:19], v[14:15]
	v_fma_f64 v[16:17], -v[8:9], v[12:13], 1.0
	v_fma_f64 v[18:19], -v[10:11], v[14:15], 1.0
	v_fma_f64 v[12:13], v[12:13], v[16:17], v[12:13]
	v_div_scale_f64 v[16:17], s0, v[0:1], v[4:5], v[0:1]
	v_fma_f64 v[14:15], v[14:15], v[18:19], v[14:15]
	v_mul_f64 v[18:19], v[20:21], v[12:13]
	v_mul_f64 v[22:23], v[16:17], v[14:15]
	v_fma_f64 v[8:9], -v[8:9], v[18:19], v[20:21]
	v_fma_f64 v[10:11], -v[10:11], v[22:23], v[16:17]
	v_div_fmas_f64 v[8:9], v[8:9], v[12:13], v[18:19]
	s_mov_b32 vcc_lo, s0
	v_div_fmas_f64 v[10:11], v[10:11], v[14:15], v[22:23]
	v_div_fixup_f64 v[2:3], v[8:9], v[2:3], v[6:7]
	v_div_fixup_f64 v[0:1], v[10:11], v[4:5], v[0:1]
	v_add_f64 v[0:1], v[2:3], -v[0:1]
	v_div_scale_f64 v[2:3], null, v[0:1], v[0:1], -1.0
	v_rcp_f64_e32 v[4:5], v[2:3]
	v_fma_f64 v[6:7], -v[2:3], v[4:5], 1.0
	v_fma_f64 v[4:5], v[4:5], v[6:7], v[4:5]
	v_fma_f64 v[6:7], -v[2:3], v[4:5], 1.0
	v_fma_f64 v[4:5], v[4:5], v[6:7], v[4:5]
	v_div_scale_f64 v[6:7], vcc_lo, -1.0, v[0:1], -1.0
	v_mul_f64 v[8:9], v[6:7], v[4:5]
	v_fma_f64 v[2:3], -v[2:3], v[8:9], v[6:7]
	v_div_fmas_f64 v[2:3], v[2:3], v[4:5], v[8:9]
	v_div_fixup_f64 v[0:1], v[2:3], v[0:1], -1.0
	s_clause 0x1
	buffer_load_dword v2, off, s[100:103], 0 offset:184
	buffer_load_dword v3, off, s[100:103], 0 offset:188
	s_waitcnt vmcnt(0)
	global_store_dwordx2 v[2:3], v[0:1], off
.LBB0_148:
	s_endpgm
	.section	.rodata,"a",@progbits
	.p2align	6, 0x0
	.amdhsa_kernel _Z5task1PdS_ii
		.amdhsa_group_segment_fixed_size 0
		.amdhsa_private_segment_fixed_size 196
		.amdhsa_kernarg_size 280
		.amdhsa_user_sgpr_count 6
		.amdhsa_user_sgpr_private_segment_buffer 1
		.amdhsa_user_sgpr_dispatch_ptr 0
		.amdhsa_user_sgpr_queue_ptr 0
		.amdhsa_user_sgpr_kernarg_segment_ptr 1
		.amdhsa_user_sgpr_dispatch_id 0
		.amdhsa_user_sgpr_flat_scratch_init 0
		.amdhsa_user_sgpr_private_segment_size 0
		.amdhsa_wavefront_size32 1
		.amdhsa_uses_dynamic_stack 0
		.amdhsa_system_sgpr_private_segment_wavefront_offset 1
		.amdhsa_system_sgpr_workgroup_id_x 1
		.amdhsa_system_sgpr_workgroup_id_y 1
		.amdhsa_system_sgpr_workgroup_id_z 0
		.amdhsa_system_sgpr_workgroup_info 0
		.amdhsa_system_vgpr_workitem_id 1
		.amdhsa_next_free_vgpr 128
		.amdhsa_next_free_sgpr 105
		.amdhsa_reserve_vcc 1
		.amdhsa_reserve_flat_scratch 0
		.amdhsa_float_round_mode_32 0
		.amdhsa_float_round_mode_16_64 0
		.amdhsa_float_denorm_mode_32 3
		.amdhsa_float_denorm_mode_16_64 3
		.amdhsa_dx10_clamp 1
		.amdhsa_ieee_mode 1
		.amdhsa_fp16_overflow 0
		.amdhsa_workgroup_processor_mode 1
		.amdhsa_memory_ordered 1
		.amdhsa_forward_progress 1
		.amdhsa_shared_vgpr_count 0
		.amdhsa_exception_fp_ieee_invalid_op 0
		.amdhsa_exception_fp_denorm_src 0
		.amdhsa_exception_fp_ieee_div_zero 0
		.amdhsa_exception_fp_ieee_overflow 0
		.amdhsa_exception_fp_ieee_underflow 0
		.amdhsa_exception_fp_ieee_inexact 0
		.amdhsa_exception_int_div_zero 0
	.end_amdhsa_kernel
	.text
.Lfunc_end0:
	.size	_Z5task1PdS_ii, .Lfunc_end0-_Z5task1PdS_ii
                                        ; -- End function
	.set _Z5task1PdS_ii.num_vgpr, 128
	.set _Z5task1PdS_ii.num_agpr, 0
	.set _Z5task1PdS_ii.numbered_sgpr, 105
	.set _Z5task1PdS_ii.num_named_barrier, 0
	.set _Z5task1PdS_ii.private_seg_size, 196
	.set _Z5task1PdS_ii.uses_vcc, 1
	.set _Z5task1PdS_ii.uses_flat_scratch, 0
	.set _Z5task1PdS_ii.has_dyn_sized_stack, 0
	.set _Z5task1PdS_ii.has_recursion, 0
	.set _Z5task1PdS_ii.has_indirect_call, 0
	.section	.AMDGPU.csdata,"",@progbits
; Kernel info:
; codeLenInByte = 52080
; TotalNumSgprs: 107
; NumVgprs: 128
; ScratchSize: 196
; MemoryBound: 1
; FloatMode: 240
; IeeeMode: 1
; LDSByteSize: 0 bytes/workgroup (compile time only)
; SGPRBlocks: 0
; VGPRBlocks: 15
; NumSGPRsForWavesPerEU: 107
; NumVGPRsForWavesPerEU: 128
; Occupancy: 8
; WaveLimiterHint : 0
; COMPUTE_PGM_RSRC2:SCRATCH_EN: 1
; COMPUTE_PGM_RSRC2:USER_SGPR: 6
; COMPUTE_PGM_RSRC2:TRAP_HANDLER: 0
; COMPUTE_PGM_RSRC2:TGID_X_EN: 1
; COMPUTE_PGM_RSRC2:TGID_Y_EN: 1
; COMPUTE_PGM_RSRC2:TGID_Z_EN: 0
; COMPUTE_PGM_RSRC2:TIDIG_COMP_CNT: 1
	.text
	.protected	_Z5task2PdS_ii          ; -- Begin function _Z5task2PdS_ii
	.globl	_Z5task2PdS_ii
	.p2align	8
	.type	_Z5task2PdS_ii,@function
_Z5task2PdS_ii:                         ; @_Z5task2PdS_ii
; %bb.0:
	s_mov_b64 s[102:103], s[2:3]
	s_mov_b64 s[100:101], s[0:1]
	s_clause 0x2
	s_load_dwordx4 s[12:15], s[4:5], 0x8
	s_load_dword s2, s[4:5], 0x18
	s_load_dword s3, s[4:5], 0x24
	s_add_u32 s100, s100, s8
	s_addc_u32 s101, s101, 0
	s_add_u32 s0, s4, 24
	s_addc_u32 s1, s5, 0
	s_waitcnt lgkmcnt(0)
	s_load_dwordx2 s[8:9], s[12:13], 0x10
	s_mul_i32 s2, s2, s14
	s_and_b32 s3, s3, 0xffff
	s_add_i32 s2, s2, s6
	v_mad_u64_u32 v[18:19], null, s2, s3, v[0:1]
	s_mov_b32 s2, exec_lo
	v_cvt_f64_u32_e32 v[2:3], v18
	s_waitcnt lgkmcnt(0)
	v_cmpx_nle_f64_e32 s[8:9], v[2:3]
	s_cbranch_execz .LBB1_175
; %bb.1:
	s_clause 0x1
	s_load_dword s2, s[0:1], 0x4
	s_load_dword s0, s[0:1], 0xc
	s_waitcnt lgkmcnt(0)
	s_mul_i32 s1, s2, s15
	s_lshr_b32 s0, s0, 16
	s_add_i32 s1, s1, s7
	v_mad_u64_u32 v[19:20], null, s1, s0, v[1:2]
	v_cvt_f64_u32_e32 v[0:1], v19
	v_cmp_nle_f64_e32 vcc_lo, s[8:9], v[0:1]
	s_and_b32 exec_lo, exec_lo, vcc_lo
	s_cbranch_execz .LBB1_175
; %bb.2:
                                        ; implicit-def: $vgpr127 : SGPR spill to VGPR lane
	s_mov_b32 s0, 0xa1fae712
	v_writelane_b32 v127, s8, 0
	s_mov_b32 s1, 0x3f91df46
	v_writelane_b32 v127, s9, 1
	s_load_dwordx4 s[8:11], s[12:13], 0x0
	s_waitcnt lgkmcnt(0)
	v_mul_f64 v[4:5], s[10:11], s[0:1]
	v_readfirstlane_b32 s6, v4
	v_readfirstlane_b32 s7, v5
	v_cmp_ngt_f64_e64 s22, 0x41d00000, |v[4:5]|
	v_trig_preop_f64 v[12:13], |s[6:7]|, 0
	v_trig_preop_f64 v[10:11], |s[6:7]|, 1
	v_cmp_le_f64_e64 s0, 0x7b000000, |s[6:7]|
	v_ldexp_f64 v[14:15], |s[6:7]|, 0xffffff80
	v_trig_preop_f64 v[8:9], |s[6:7]|, 2
	s_and_b32 vcc_lo, exec_lo, s22
	s_cbranch_vccz .LBB1_4
; %bb.3:
	s_and_b32 s1, s7, 0x7fffffff
	v_cndmask_b32_e64 v4, s6, v14, s0
	v_cndmask_b32_e64 v5, s1, v15, s0
	s_mov_b32 s0, 0
	s_mov_b32 s2, 0x54442d18
	;; [unrolled: 1-line block ×4, first 2 shown]
	v_mul_f64 v[6:7], v[12:13], v[4:5]
	v_mul_f64 v[16:17], v[10:11], v[4:5]
	;; [unrolled: 1-line block ×3, first 2 shown]
	s_mov_b32 s11, 0x3c91a626
	v_fma_f64 v[20:21], v[12:13], v[4:5], -v[6:7]
	v_fma_f64 v[32:33], v[10:11], v[4:5], -v[16:17]
	;; [unrolled: 1-line block ×3, first 2 shown]
	v_add_f64 v[22:23], v[16:17], v[20:21]
	v_add_f64 v[24:25], v[22:23], -v[16:17]
	v_add_f64 v[28:29], v[6:7], v[22:23]
	v_add_f64 v[26:27], v[22:23], -v[24:25]
	v_add_f64 v[20:21], v[20:21], -v[24:25]
	v_ldexp_f64 v[24:25], v[28:29], -2
	v_add_f64 v[6:7], v[28:29], -v[6:7]
	v_add_f64 v[16:17], v[16:17], -v[26:27]
	v_add_f64 v[26:27], v[30:31], v[32:33]
	v_cmp_neq_f64_e64 vcc_lo, 0x7ff00000, |v[24:25]|
	v_add_f64 v[6:7], v[22:23], -v[6:7]
	v_add_f64 v[16:17], v[20:21], v[16:17]
	v_fract_f64_e32 v[20:21], v[24:25]
	v_add_f64 v[22:23], v[26:27], v[16:17]
	v_ldexp_f64 v[20:21], v[20:21], 2
	v_add_f64 v[24:25], v[6:7], v[22:23]
	v_cndmask_b32_e32 v21, 0, v21, vcc_lo
	v_cndmask_b32_e32 v20, 0, v20, vcc_lo
	v_add_f64 v[34:35], v[22:23], -v[26:27]
	v_add_f64 v[28:29], v[24:25], v[20:21]
	v_add_f64 v[6:7], v[24:25], -v[6:7]
	v_add_f64 v[40:41], v[22:23], -v[34:35]
	;; [unrolled: 1-line block ×3, first 2 shown]
	v_cmp_gt_f64_e32 vcc_lo, 0, v[28:29]
	v_add_f64 v[28:29], v[26:27], -v[30:31]
	v_add_f64 v[6:7], v[22:23], -v[6:7]
	s_and_b32 s1, vcc_lo, exec_lo
	s_cselect_b32 s1, 0x40100000, 0
	v_add_f64 v[38:39], v[26:27], -v[28:29]
	v_add_f64 v[20:21], v[20:21], s[0:1]
	v_add_f64 v[28:29], v[32:33], -v[28:29]
	v_add_f64 v[26:27], v[26:27], -v[40:41]
	;; [unrolled: 1-line block ×3, first 2 shown]
	v_add_f64 v[36:37], v[24:25], v[20:21]
	v_add_f64 v[16:17], v[16:17], v[26:27]
	;; [unrolled: 1-line block ×3, first 2 shown]
	v_cvt_i32_f64_e32 v36, v[36:37]
	v_add_f64 v[16:17], v[28:29], v[16:17]
	v_cvt_f64_i32_e32 v[34:35], v36
	v_add_f64 v[4:5], v[4:5], v[16:17]
	v_add_f64 v[20:21], v[20:21], -v[34:35]
	v_add_f64 v[4:5], v[6:7], v[4:5]
	v_add_f64 v[26:27], v[24:25], v[20:21]
	v_add_f64 v[16:17], v[26:27], -v[20:21]
	v_cmp_le_f64_e32 vcc_lo, 0.5, v[26:27]
	v_add_f64 v[6:7], v[24:25], -v[16:17]
	s_and_b32 s1, vcc_lo, exec_lo
	s_cselect_b32 s1, 0x3ff00000, 0
	v_add_co_ci_u32_e64 v41, null, 0, v36, vcc_lo
	v_add_f64 v[4:5], v[4:5], v[6:7]
	v_add_f64 v[6:7], v[26:27], -s[0:1]
	v_add_f64 v[16:17], v[6:7], v[4:5]
	v_mul_f64 v[20:21], v[16:17], s[2:3]
	v_add_f64 v[6:7], v[16:17], -v[6:7]
	v_fma_f64 v[22:23], v[16:17], s[2:3], -v[20:21]
	v_add_f64 v[4:5], v[4:5], -v[6:7]
	v_fma_f64 v[6:7], v[16:17], s[10:11], v[22:23]
	v_fma_f64 v[6:7], v[4:5], s[2:3], v[6:7]
	v_add_f64 v[4:5], v[20:21], v[6:7]
	v_add_f64 v[16:17], v[4:5], -v[20:21]
	v_add_f64 v[6:7], v[6:7], -v[16:17]
	s_cbranch_execz .LBB1_5
	s_branch .LBB1_6
.LBB1_4:
                                        ; implicit-def: $vgpr41
                                        ; implicit-def: $vgpr4_vgpr5
                                        ; implicit-def: $vgpr6_vgpr7
.LBB1_5:
	s_mov_b32 s0, 0x6dc9c883
	s_mov_b32 s1, 0x3fe45f30
	s_mov_b32 s3, 0xbc91a626
	v_mul_f64 v[4:5], |s[6:7]|, s[0:1]
	s_mov_b32 s0, 0x54442d18
	s_mov_b32 s1, 0xbff921fb
	;; [unrolled: 1-line block ×3, first 2 shown]
	v_rndne_f64_e32 v[16:17], v[4:5]
	v_fma_f64 v[4:5], v[16:17], s[0:1], |s[6:7]|
	v_mul_f64 v[6:7], v[16:17], s[2:3]
	s_mov_b32 s0, 0x252049c0
	s_mov_b32 s1, 0xb97b839a
	v_cvt_i32_f64_e32 v41, v[16:17]
	v_fma_f64 v[22:23], v[16:17], s[2:3], v[4:5]
	v_add_f64 v[20:21], v[4:5], v[6:7]
	s_mov_b32 s3, 0x3c91a626
	v_add_f64 v[4:5], v[4:5], -v[20:21]
	v_add_f64 v[20:21], v[20:21], -v[22:23]
	v_add_f64 v[4:5], v[4:5], v[6:7]
	v_fma_f64 v[6:7], v[16:17], s[2:3], v[6:7]
	v_add_f64 v[4:5], v[20:21], v[4:5]
	v_add_f64 v[4:5], v[4:5], -v[6:7]
	v_fma_f64 v[6:7], v[16:17], s[0:1], v[4:5]
	v_add_f64 v[4:5], v[22:23], v[6:7]
	v_add_f64 v[20:21], v[4:5], -v[22:23]
	v_add_f64 v[6:7], v[6:7], -v[20:21]
.LBB1_6:
	s_and_b32 vcc_lo, exec_lo, s22
	s_cbranch_vccz .LBB1_8
; %bb.7:
	v_cmp_le_f64_e64 vcc_lo, 0x7b000000, |s[6:7]|
	s_and_b32 s0, s7, 0x7fffffff
	s_mov_b32 s2, 0x54442d18
	s_mov_b32 s3, 0x3ff921fb
	;; [unrolled: 1-line block ×4, first 2 shown]
	v_cndmask_b32_e32 v17, s0, v15, vcc_lo
	v_cndmask_b32_e32 v16, s6, v14, vcc_lo
	s_mov_b32 s0, 0
	v_mul_f64 v[20:21], v[12:13], v[16:17]
	v_mul_f64 v[22:23], v[10:11], v[16:17]
	;; [unrolled: 1-line block ×3, first 2 shown]
	v_fma_f64 v[24:25], v[12:13], v[16:17], -v[20:21]
	v_fma_f64 v[36:37], v[10:11], v[16:17], -v[22:23]
	;; [unrolled: 1-line block ×3, first 2 shown]
	v_add_f64 v[26:27], v[22:23], v[24:25]
	v_add_f64 v[28:29], v[26:27], -v[22:23]
	v_add_f64 v[32:33], v[20:21], v[26:27]
	v_add_f64 v[30:31], v[26:27], -v[28:29]
	v_add_f64 v[24:25], v[24:25], -v[28:29]
	v_ldexp_f64 v[28:29], v[32:33], -2
	v_add_f64 v[20:21], v[32:33], -v[20:21]
	v_add_f64 v[22:23], v[22:23], -v[30:31]
	v_add_f64 v[30:31], v[34:35], v[36:37]
	v_cmp_neq_f64_e64 vcc_lo, 0x7ff00000, |v[28:29]|
	v_add_f64 v[20:21], v[26:27], -v[20:21]
	v_add_f64 v[22:23], v[24:25], v[22:23]
	v_fract_f64_e32 v[24:25], v[28:29]
	v_add_f64 v[26:27], v[30:31], v[22:23]
	v_ldexp_f64 v[24:25], v[24:25], 2
	v_add_f64 v[28:29], v[20:21], v[26:27]
	v_cndmask_b32_e32 v25, 0, v25, vcc_lo
	v_cndmask_b32_e32 v24, 0, v24, vcc_lo
	v_add_f64 v[38:39], v[26:27], -v[30:31]
	v_add_f64 v[32:33], v[28:29], v[24:25]
	v_add_f64 v[20:21], v[28:29], -v[20:21]
	v_add_f64 v[46:47], v[26:27], -v[38:39]
	;; [unrolled: 1-line block ×3, first 2 shown]
	v_cmp_gt_f64_e32 vcc_lo, 0, v[32:33]
	v_add_f64 v[32:33], v[30:31], -v[34:35]
	v_add_f64 v[20:21], v[26:27], -v[20:21]
	s_and_b32 s1, vcc_lo, exec_lo
	s_cselect_b32 s1, 0x40100000, 0
	v_add_f64 v[44:45], v[30:31], -v[32:33]
	v_add_f64 v[24:25], v[24:25], s[0:1]
	v_add_f64 v[32:33], v[36:37], -v[32:33]
	v_add_f64 v[30:31], v[30:31], -v[46:47]
	;; [unrolled: 1-line block ×3, first 2 shown]
	v_add_f64 v[42:43], v[28:29], v[24:25]
	v_add_f64 v[22:23], v[22:23], v[30:31]
	;; [unrolled: 1-line block ×3, first 2 shown]
	v_cvt_i32_f64_e32 v40, v[42:43]
	v_add_f64 v[22:23], v[32:33], v[22:23]
	v_cvt_f64_i32_e32 v[38:39], v40
	v_add_f64 v[16:17], v[16:17], v[22:23]
	v_add_f64 v[24:25], v[24:25], -v[38:39]
	v_add_f64 v[16:17], v[20:21], v[16:17]
	v_add_f64 v[30:31], v[28:29], v[24:25]
	v_add_f64 v[22:23], v[30:31], -v[24:25]
	v_cmp_le_f64_e32 vcc_lo, 0.5, v[30:31]
	v_add_f64 v[20:21], v[28:29], -v[22:23]
	s_and_b32 s1, vcc_lo, exec_lo
	s_cselect_b32 s1, 0x3ff00000, 0
	v_add_co_ci_u32_e64 v28, null, 0, v40, vcc_lo
	v_add_f64 v[16:17], v[16:17], v[20:21]
	v_add_f64 v[20:21], v[30:31], -s[0:1]
	v_add_f64 v[22:23], v[20:21], v[16:17]
	v_mul_f64 v[24:25], v[22:23], s[2:3]
	v_add_f64 v[20:21], v[22:23], -v[20:21]
	v_fma_f64 v[26:27], v[22:23], s[2:3], -v[24:25]
	v_add_f64 v[16:17], v[16:17], -v[20:21]
	v_fma_f64 v[20:21], v[22:23], s[10:11], v[26:27]
	v_fma_f64 v[20:21], v[16:17], s[2:3], v[20:21]
	v_add_f64 v[16:17], v[24:25], v[20:21]
	v_add_f64 v[22:23], v[16:17], -v[24:25]
	v_add_f64 v[20:21], v[20:21], -v[22:23]
	s_cbranch_execz .LBB1_9
	s_branch .LBB1_10
.LBB1_8:
                                        ; implicit-def: $vgpr28
                                        ; implicit-def: $vgpr16_vgpr17
                                        ; implicit-def: $vgpr20_vgpr21
.LBB1_9:
	s_mov_b32 s0, 0x6dc9c883
	s_mov_b32 s1, 0x3fe45f30
	;; [unrolled: 1-line block ×3, first 2 shown]
	v_mul_f64 v[16:17], |s[6:7]|, s[0:1]
	s_mov_b32 s0, 0x54442d18
	s_mov_b32 s1, 0xbff921fb
	;; [unrolled: 1-line block ×3, first 2 shown]
	v_rndne_f64_e32 v[22:23], v[16:17]
	v_fma_f64 v[16:17], v[22:23], s[0:1], |s[6:7]|
	v_mul_f64 v[20:21], v[22:23], s[2:3]
	s_mov_b32 s0, 0x252049c0
	s_mov_b32 s1, 0xb97b839a
	v_cvt_i32_f64_e32 v28, v[22:23]
	v_fma_f64 v[26:27], v[22:23], s[2:3], v[16:17]
	v_add_f64 v[24:25], v[16:17], v[20:21]
	s_mov_b32 s3, 0x3c91a626
	v_add_f64 v[16:17], v[16:17], -v[24:25]
	v_add_f64 v[24:25], v[24:25], -v[26:27]
	v_add_f64 v[16:17], v[16:17], v[20:21]
	v_fma_f64 v[20:21], v[22:23], s[2:3], v[20:21]
	v_add_f64 v[16:17], v[24:25], v[16:17]
	v_add_f64 v[16:17], v[16:17], -v[20:21]
	v_fma_f64 v[20:21], v[22:23], s[0:1], v[16:17]
	v_add_f64 v[16:17], v[26:27], v[20:21]
	v_add_f64 v[24:25], v[16:17], -v[26:27]
	v_add_f64 v[20:21], v[20:21], -v[24:25]
.LBB1_10:
	s_and_b32 vcc_lo, exec_lo, s22
	s_cbranch_vccz .LBB1_12
; %bb.11:
	v_cmp_le_f64_e64 vcc_lo, 0x7b000000, |s[6:7]|
	s_and_b32 s0, s7, 0x7fffffff
	s_mov_b32 s2, 0x54442d18
	s_mov_b32 s3, 0x3ff921fb
	;; [unrolled: 1-line block ×4, first 2 shown]
	v_cndmask_b32_e32 v23, s0, v15, vcc_lo
	v_cndmask_b32_e32 v22, s6, v14, vcc_lo
	s_mov_b32 s0, 0
	v_mul_f64 v[24:25], v[12:13], v[22:23]
	v_mul_f64 v[26:27], v[10:11], v[22:23]
	;; [unrolled: 1-line block ×3, first 2 shown]
	v_fma_f64 v[29:30], v[12:13], v[22:23], -v[24:25]
	v_fma_f64 v[42:43], v[10:11], v[22:23], -v[26:27]
	;; [unrolled: 1-line block ×3, first 2 shown]
	v_add_f64 v[31:32], v[26:27], v[29:30]
	v_add_f64 v[33:34], v[31:32], -v[26:27]
	v_add_f64 v[37:38], v[24:25], v[31:32]
	v_add_f64 v[35:36], v[31:32], -v[33:34]
	v_add_f64 v[29:30], v[29:30], -v[33:34]
	v_ldexp_f64 v[33:34], v[37:38], -2
	v_add_f64 v[24:25], v[37:38], -v[24:25]
	v_add_f64 v[26:27], v[26:27], -v[35:36]
	v_add_f64 v[35:36], v[39:40], v[42:43]
	v_cmp_neq_f64_e64 vcc_lo, 0x7ff00000, |v[33:34]|
	v_add_f64 v[24:25], v[31:32], -v[24:25]
	v_add_f64 v[26:27], v[29:30], v[26:27]
	v_fract_f64_e32 v[29:30], v[33:34]
	v_add_f64 v[31:32], v[35:36], v[26:27]
	v_ldexp_f64 v[29:30], v[29:30], 2
	v_add_f64 v[33:34], v[24:25], v[31:32]
	v_cndmask_b32_e32 v30, 0, v30, vcc_lo
	v_cndmask_b32_e32 v29, 0, v29, vcc_lo
	v_add_f64 v[44:45], v[31:32], -v[35:36]
	v_add_f64 v[37:38], v[33:34], v[29:30]
	v_add_f64 v[24:25], v[33:34], -v[24:25]
	v_add_f64 v[50:51], v[31:32], -v[44:45]
	;; [unrolled: 1-line block ×3, first 2 shown]
	v_cmp_gt_f64_e32 vcc_lo, 0, v[37:38]
	v_add_f64 v[37:38], v[35:36], -v[39:40]
	v_add_f64 v[24:25], v[31:32], -v[24:25]
	s_and_b32 s1, vcc_lo, exec_lo
	s_cselect_b32 s1, 0x40100000, 0
	v_add_f64 v[48:49], v[35:36], -v[37:38]
	v_add_f64 v[29:30], v[29:30], s[0:1]
	v_add_f64 v[37:38], v[42:43], -v[37:38]
	v_add_f64 v[35:36], v[35:36], -v[50:51]
	;; [unrolled: 1-line block ×3, first 2 shown]
	v_add_f64 v[46:47], v[33:34], v[29:30]
	v_add_f64 v[26:27], v[26:27], v[35:36]
	;; [unrolled: 1-line block ×3, first 2 shown]
	v_cvt_i32_f64_e32 v46, v[46:47]
	v_add_f64 v[26:27], v[37:38], v[26:27]
	v_cvt_f64_i32_e32 v[44:45], v46
	v_add_f64 v[22:23], v[22:23], v[26:27]
	v_add_f64 v[29:30], v[29:30], -v[44:45]
	v_add_f64 v[22:23], v[24:25], v[22:23]
	v_add_f64 v[35:36], v[33:34], v[29:30]
	v_add_f64 v[26:27], v[35:36], -v[29:30]
	v_cmp_le_f64_e32 vcc_lo, 0.5, v[35:36]
	v_add_f64 v[24:25], v[33:34], -v[26:27]
	s_and_b32 s1, vcc_lo, exec_lo
	s_cselect_b32 s1, 0x3ff00000, 0
	v_add_co_ci_u32_e64 v42, null, 0, v46, vcc_lo
	v_add_f64 v[22:23], v[22:23], v[24:25]
	v_add_f64 v[24:25], v[35:36], -s[0:1]
	v_add_f64 v[26:27], v[24:25], v[22:23]
	v_mul_f64 v[29:30], v[26:27], s[2:3]
	v_add_f64 v[24:25], v[26:27], -v[24:25]
	v_fma_f64 v[31:32], v[26:27], s[2:3], -v[29:30]
	v_add_f64 v[22:23], v[22:23], -v[24:25]
	v_fma_f64 v[24:25], v[26:27], s[10:11], v[31:32]
	v_fma_f64 v[24:25], v[22:23], s[2:3], v[24:25]
	v_add_f64 v[22:23], v[29:30], v[24:25]
	v_add_f64 v[26:27], v[22:23], -v[29:30]
	v_add_f64 v[24:25], v[24:25], -v[26:27]
	s_cbranch_execz .LBB1_13
	s_branch .LBB1_14
.LBB1_12:
                                        ; implicit-def: $vgpr42
                                        ; implicit-def: $vgpr22_vgpr23
                                        ; implicit-def: $vgpr24_vgpr25
.LBB1_13:
	s_mov_b32 s0, 0x6dc9c883
	s_mov_b32 s1, 0x3fe45f30
	;; [unrolled: 1-line block ×3, first 2 shown]
	v_mul_f64 v[22:23], |s[6:7]|, s[0:1]
	s_mov_b32 s0, 0x54442d18
	s_mov_b32 s1, 0xbff921fb
	;; [unrolled: 1-line block ×3, first 2 shown]
	v_rndne_f64_e32 v[26:27], v[22:23]
	v_fma_f64 v[22:23], v[26:27], s[0:1], |s[6:7]|
	v_mul_f64 v[24:25], v[26:27], s[2:3]
	s_mov_b32 s0, 0x252049c0
	s_mov_b32 s1, 0xb97b839a
	v_cvt_i32_f64_e32 v42, v[26:27]
	v_fma_f64 v[31:32], v[26:27], s[2:3], v[22:23]
	v_add_f64 v[29:30], v[22:23], v[24:25]
	s_mov_b32 s3, 0x3c91a626
	v_add_f64 v[22:23], v[22:23], -v[29:30]
	v_add_f64 v[29:30], v[29:30], -v[31:32]
	v_add_f64 v[22:23], v[22:23], v[24:25]
	v_fma_f64 v[24:25], v[26:27], s[2:3], v[24:25]
	v_add_f64 v[22:23], v[29:30], v[22:23]
	v_add_f64 v[22:23], v[22:23], -v[24:25]
	v_fma_f64 v[24:25], v[26:27], s[0:1], v[22:23]
	v_add_f64 v[22:23], v[31:32], v[24:25]
	v_add_f64 v[29:30], v[22:23], -v[31:32]
	v_add_f64 v[24:25], v[24:25], -v[29:30]
.LBB1_14:
	s_and_b32 vcc_lo, exec_lo, s22
	s_cbranch_vccz .LBB1_16
; %bb.15:
	v_cmp_le_f64_e64 vcc_lo, 0x7b000000, |s[6:7]|
	s_and_b32 s0, s7, 0x7fffffff
	s_mov_b32 s2, 0x54442d18
	s_mov_b32 s3, 0x3ff921fb
	;; [unrolled: 1-line block ×4, first 2 shown]
	v_cndmask_b32_e32 v27, s0, v15, vcc_lo
	v_cndmask_b32_e32 v26, s6, v14, vcc_lo
	s_mov_b32 s0, 0
	v_mul_f64 v[29:30], v[12:13], v[26:27]
	v_mul_f64 v[31:32], v[10:11], v[26:27]
	;; [unrolled: 1-line block ×3, first 2 shown]
	v_fma_f64 v[33:34], v[12:13], v[26:27], -v[29:30]
	v_fma_f64 v[47:48], v[10:11], v[26:27], -v[31:32]
	;; [unrolled: 1-line block ×3, first 2 shown]
	v_add_f64 v[35:36], v[31:32], v[33:34]
	v_add_f64 v[37:38], v[35:36], -v[31:32]
	v_add_f64 v[43:44], v[29:30], v[35:36]
	v_add_f64 v[39:40], v[35:36], -v[37:38]
	v_add_f64 v[33:34], v[33:34], -v[37:38]
	v_ldexp_f64 v[37:38], v[43:44], -2
	v_add_f64 v[29:30], v[43:44], -v[29:30]
	v_add_f64 v[31:32], v[31:32], -v[39:40]
	v_add_f64 v[39:40], v[45:46], v[47:48]
	v_cmp_neq_f64_e64 vcc_lo, 0x7ff00000, |v[37:38]|
	v_add_f64 v[29:30], v[35:36], -v[29:30]
	v_add_f64 v[31:32], v[33:34], v[31:32]
	v_fract_f64_e32 v[33:34], v[37:38]
	v_add_f64 v[35:36], v[39:40], v[31:32]
	v_ldexp_f64 v[33:34], v[33:34], 2
	v_add_f64 v[37:38], v[29:30], v[35:36]
	v_cndmask_b32_e32 v34, 0, v34, vcc_lo
	v_cndmask_b32_e32 v33, 0, v33, vcc_lo
	v_add_f64 v[49:50], v[35:36], -v[39:40]
	v_add_f64 v[43:44], v[37:38], v[33:34]
	v_add_f64 v[29:30], v[37:38], -v[29:30]
	v_add_f64 v[55:56], v[35:36], -v[49:50]
	;; [unrolled: 1-line block ×3, first 2 shown]
	v_cmp_gt_f64_e32 vcc_lo, 0, v[43:44]
	v_add_f64 v[43:44], v[39:40], -v[45:46]
	v_add_f64 v[29:30], v[35:36], -v[29:30]
	s_and_b32 s1, vcc_lo, exec_lo
	s_cselect_b32 s1, 0x40100000, 0
	v_add_f64 v[53:54], v[39:40], -v[43:44]
	v_add_f64 v[33:34], v[33:34], s[0:1]
	v_add_f64 v[43:44], v[47:48], -v[43:44]
	v_add_f64 v[39:40], v[39:40], -v[55:56]
	;; [unrolled: 1-line block ×3, first 2 shown]
	v_add_f64 v[51:52], v[37:38], v[33:34]
	v_add_f64 v[31:32], v[31:32], v[39:40]
	;; [unrolled: 1-line block ×3, first 2 shown]
	v_cvt_i32_f64_e32 v51, v[51:52]
	v_add_f64 v[31:32], v[43:44], v[31:32]
	v_cvt_f64_i32_e32 v[49:50], v51
	v_add_f64 v[26:27], v[26:27], v[31:32]
	v_add_f64 v[33:34], v[33:34], -v[49:50]
	v_add_f64 v[26:27], v[29:30], v[26:27]
	v_add_f64 v[39:40], v[37:38], v[33:34]
	v_add_f64 v[31:32], v[39:40], -v[33:34]
	v_cmp_le_f64_e32 vcc_lo, 0.5, v[39:40]
	v_add_f64 v[29:30], v[37:38], -v[31:32]
	s_and_b32 s1, vcc_lo, exec_lo
	s_cselect_b32 s1, 0x3ff00000, 0
	v_add_co_ci_u32_e64 v43, null, 0, v51, vcc_lo
	v_add_f64 v[26:27], v[26:27], v[29:30]
	v_add_f64 v[29:30], v[39:40], -s[0:1]
	v_add_f64 v[31:32], v[29:30], v[26:27]
	v_mul_f64 v[33:34], v[31:32], s[2:3]
	v_add_f64 v[29:30], v[31:32], -v[29:30]
	v_fma_f64 v[35:36], v[31:32], s[2:3], -v[33:34]
	v_add_f64 v[26:27], v[26:27], -v[29:30]
	v_fma_f64 v[29:30], v[31:32], s[10:11], v[35:36]
	v_fma_f64 v[26:27], v[26:27], s[2:3], v[29:30]
	v_add_f64 v[29:30], v[33:34], v[26:27]
	v_add_f64 v[31:32], v[29:30], -v[33:34]
	v_add_f64 v[26:27], v[26:27], -v[31:32]
	s_cbranch_execz .LBB1_17
	s_branch .LBB1_18
.LBB1_16:
                                        ; implicit-def: $vgpr43
                                        ; implicit-def: $vgpr29_vgpr30
                                        ; implicit-def: $vgpr26_vgpr27
.LBB1_17:
	s_mov_b32 s0, 0x6dc9c883
	s_mov_b32 s1, 0x3fe45f30
	s_mov_b32 s3, 0xbc91a626
	v_mul_f64 v[26:27], |s[6:7]|, s[0:1]
	s_mov_b32 s0, 0x54442d18
	s_mov_b32 s1, 0xbff921fb
	;; [unrolled: 1-line block ×3, first 2 shown]
	v_rndne_f64_e32 v[31:32], v[26:27]
	v_fma_f64 v[26:27], v[31:32], s[0:1], |s[6:7]|
	v_mul_f64 v[29:30], v[31:32], s[2:3]
	s_mov_b32 s0, 0x252049c0
	s_mov_b32 s1, 0xb97b839a
	v_cvt_i32_f64_e32 v43, v[31:32]
	v_fma_f64 v[35:36], v[31:32], s[2:3], v[26:27]
	v_add_f64 v[33:34], v[26:27], v[29:30]
	s_mov_b32 s3, 0x3c91a626
	v_add_f64 v[26:27], v[26:27], -v[33:34]
	v_add_f64 v[33:34], v[33:34], -v[35:36]
	v_add_f64 v[26:27], v[26:27], v[29:30]
	v_fma_f64 v[29:30], v[31:32], s[2:3], v[29:30]
	v_add_f64 v[26:27], v[33:34], v[26:27]
	v_add_f64 v[26:27], v[26:27], -v[29:30]
	v_fma_f64 v[26:27], v[31:32], s[0:1], v[26:27]
	v_add_f64 v[29:30], v[35:36], v[26:27]
	v_add_f64 v[33:34], v[29:30], -v[35:36]
	v_add_f64 v[26:27], v[26:27], -v[33:34]
.LBB1_18:
	v_readlane_b32 s0, v127, 0
	v_readlane_b32 s1, v127, 1
	v_mul_f64 v[37:38], v[22:23], v[22:23]
	v_mul_f64 v[39:40], v[16:17], v[16:17]
	s_mov_b32 s2, 0xf9a43bb8
	s_mov_b32 s3, 0x3de5e0b2
	v_cvt_i32_f64_e32 v31, s[0:1]
	s_mov_b32 s0, 0xb42fdfa7
	s_mov_b32 s1, 0xbe5ae600
	v_mul_f64 v[52:53], v[4:5], v[4:5]
	s_mov_b32 s14, 0x9037ab78
	s_mov_b32 s16, 0x46cc5e42
	;; [unrolled: 1-line block ×8, first 2 shown]
	v_mul_f64 v[80:81], v[24:25], 0.5
	s_mov_b32 s18, 0x19f4ec90
	s_mov_b32 s19, 0x3efa01a0
	v_mul_f64 v[82:83], v[20:21], 0.5
	v_add_f64 v[0:1], v[0:1], 1.0
	v_add_f64 v[2:3], v[2:3], 1.0
	v_fma_f64 v[46:47], v[37:38], s[2:3], s[0:1]
	v_fma_f64 v[48:49], v[39:40], s[2:3], s[0:1]
	v_mul_f64 v[54:55], v[37:38], -0.5
	v_fma_f64 v[56:57], v[37:38], s[16:17], s[14:15]
	v_cvt_f64_i32_e32 v[31:32], v31
	v_fma_f64 v[62:63], v[39:40], s[16:17], s[14:15]
	v_mul_f64 v[64:65], v[39:40], -0.5
	v_fma_f64 v[60:61], v[52:53], s[2:3], s[0:1]
	v_mul_f64 v[70:71], v[52:53], -0.5
	v_fma_f64 v[72:73], v[52:53], s[16:17], s[14:15]
	v_mul_f64 v[84:85], v[22:23], -v[37:38]
	v_mul_f64 v[86:87], v[16:17], -v[39:40]
	v_mul_f64 v[104:105], v[37:38], v[37:38]
	v_mul_f64 v[106:107], v[39:40], v[39:40]
	v_add_f64 v[66:67], v[54:55], 1.0
	v_fma_f64 v[56:57], v[37:38], v[56:57], s[24:25]
	v_add_f64 v[33:34], v[31:32], 1.0
	v_fma_f64 v[31:32], s[8:9], s[8:9], 0x412e8480
	v_fma_f64 v[62:63], v[39:40], v[62:63], s[24:25]
	v_add_f64 v[78:79], v[64:65], 1.0
	v_add_f64 v[96:97], v[70:71], 1.0
	v_fma_f64 v[72:73], v[52:53], v[72:73], s[24:25]
	v_add_f64 v[88:89], -v[66:67], 1.0
	v_fma_f64 v[56:57], v[37:38], v[56:57], s[18:19]
	v_div_scale_f64 v[35:36], null, v[33:34], v[33:34], 0x40340000
	v_cmp_gt_f64_e32 vcc_lo, 0x10000000, v[31:32]
	v_fma_f64 v[62:63], v[39:40], v[62:63], s[18:19]
	v_add_f64 v[100:101], -v[96:97], 1.0
	v_fma_f64 v[72:73], v[52:53], v[72:73], s[18:19]
	v_add_f64 v[54:55], v[88:89], v[54:55]
	v_mul_f64 v[88:89], v[6:7], 0.5
	v_rcp_f64_e32 v[44:45], v[35:36]
	s_and_b32 s10, vcc_lo, exec_lo
	s_cselect_b32 s10, 0x100, 0
	v_div_scale_f64 v[98:99], vcc_lo, 0x40340000, v[33:34], 0x40340000
	v_ldexp_f64 v[31:32], v[31:32], s10
	s_mov_b32 s10, 0x796cde01
	s_mov_b32 s11, 0x3ec71de3
	v_add_f64 v[70:71], v[100:101], v[70:71]
	v_fma_f64 v[46:47], v[37:38], v[46:47], s[10:11]
	v_fma_f64 v[48:49], v[39:40], v[48:49], s[10:11]
	;; [unrolled: 1-line block ×3, first 2 shown]
	v_fma_f64 v[54:55], v[22:23], -v[24:25], v[54:55]
	v_fma_f64 v[50:51], -v[35:36], v[44:45], 1.0
	v_rsq_f64_e32 v[58:59], v[31:32]
	v_fma_f64 v[46:47], v[37:38], v[46:47], s[20:21]
	v_fma_f64 v[48:49], v[39:40], v[48:49], s[20:21]
	;; [unrolled: 1-line block ×4, first 2 shown]
	v_mul_f64 v[50:51], v[29:30], v[29:30]
	v_mul_f64 v[68:69], v[31:32], v[58:59]
	v_mul_f64 v[58:59], v[58:59], 0.5
	v_fma_f64 v[74:75], -v[35:36], v[44:45], 1.0
	v_fma_f64 v[76:77], v[50:51], s[2:3], s[0:1]
	s_mov_b32 s0, 0x11110bb3
	s_mov_b32 s1, 0x3f811111
	v_mul_f64 v[90:91], v[50:51], -0.5
	v_fma_f64 v[46:47], v[37:38], v[46:47], s[0:1]
	v_fma_f64 v[48:49], v[39:40], v[48:49], s[0:1]
	v_fma_f64 v[94:95], -v[58:59], v[68:69], 0.5
	v_fma_f64 v[92:93], v[50:51], s[16:17], s[14:15]
	s_mov_b32 s2, 0x16c16967
	s_mov_b32 s3, 0xbf56c16c
	v_fma_f64 v[60:61], v[52:53], v[60:61], s[0:1]
	v_fma_f64 v[56:57], v[37:38], v[56:57], s[2:3]
	;; [unrolled: 1-line block ×4, first 2 shown]
	s_mov_b32 s15, 0xbfc55555
	v_fma_f64 v[44:45], v[44:45], v[74:75], v[44:45]
	v_fma_f64 v[74:75], v[50:51], v[76:77], s[10:11]
	v_add_f64 v[76:77], -v[78:79], 1.0
	s_mov_b32 s10, 0x55555555
	s_mov_b32 s11, 0x3fa55555
	v_fma_f64 v[46:47], v[84:85], v[46:47], v[80:81]
	v_fma_f64 v[48:49], v[86:87], v[48:49], v[82:83]
	;; [unrolled: 1-line block ×3, first 2 shown]
	v_add_f64 v[80:81], v[90:91], 1.0
	v_fma_f64 v[92:93], v[50:51], v[92:93], s[24:25]
	v_mul_f64 v[82:83], v[4:5], -v[52:53]
	s_mov_b32 s14, s10
	v_fma_f64 v[56:57], v[37:38], v[56:57], s[10:11]
	v_mul_f64 v[102:103], v[98:99], v[44:45]
	v_fma_f64 v[74:75], v[50:51], v[74:75], s[20:21]
	v_add_f64 v[64:65], v[76:77], v[64:65]
	v_mul_f64 v[76:77], v[26:27], 0.5
	v_fma_f64 v[24:25], v[37:38], v[46:47], -v[24:25]
	v_fma_f64 v[46:47], v[58:59], v[94:95], v[58:59]
	v_fma_f64 v[58:59], -v[68:69], v[68:69], v[31:32]
	v_fma_f64 v[48:49], v[39:40], v[48:49], -v[20:21]
	v_add_f64 v[37:38], -v[80:81], 1.0
	v_fma_f64 v[92:93], v[50:51], v[92:93], s[18:19]
	v_mul_f64 v[94:95], v[29:30], -v[50:51]
	v_fma_f64 v[60:61], v[82:83], v[60:61], v[88:89]
	v_fma_f64 v[39:40], v[39:40], v[62:63], s[10:11]
	v_fma_f64 v[54:55], v[104:105], v[56:57], v[54:55]
	v_mul_f64 v[56:57], v[52:53], v[52:53]
	v_fma_f64 v[35:36], -v[35:36], v[102:103], v[98:99]
	v_fma_f64 v[74:75], v[50:51], v[74:75], s[0:1]
	v_fma_f64 v[20:21], v[16:17], -v[20:21], v[64:65]
	v_fma_f64 v[64:65], v[52:53], v[72:73], s[10:11]
	v_cmp_class_f64_e64 s1, s[6:7], 0x1f8
	v_fma_f64 v[24:25], v[84:85], s[14:15], v[24:25]
	v_fma_f64 v[58:59], v[58:59], v[46:47], v[68:69]
	;; [unrolled: 1-line block ×3, first 2 shown]
	v_add_f64 v[37:38], v[37:38], v[90:91]
	v_fma_f64 v[62:63], v[50:51], v[92:93], s[2:3]
	v_div_fmas_f64 v[35:36], v[35:36], v[44:45], v[102:103]
	v_fma_f64 v[44:45], v[4:5], -v[6:7], v[70:71]
	v_fma_f64 v[68:69], v[94:95], v[74:75], v[76:77]
	v_fma_f64 v[6:7], v[52:53], v[60:61], -v[6:7]
	v_fma_f64 v[20:21], v[106:107], v[39:40], v[20:21]
	v_add_f64 v[22:23], v[22:23], -v[24:25]
	v_add_f64 v[39:40], v[66:67], v[54:55]
	v_fma_f64 v[24:25], -v[58:59], v[58:59], v[31:32]
	v_add_f64 v[16:17], v[16:17], -v[48:49]
	v_mul_f64 v[52:53], v[50:51], v[50:51]
	v_fma_f64 v[54:55], v[50:51], v[62:63], s[10:11]
	v_fma_f64 v[37:38], v[29:30], -v[26:27], v[37:38]
	s_mov_b32 s10, 0x9fea6a70
	s_mov_b32 s11, 0x3fa05985
	v_div_fixup_f64 v[33:34], v[35:36], v[33:34], 0x40340000
	v_fma_f64 v[35:36], v[56:57], v[64:65], v[44:45]
	v_fma_f64 v[44:45], v[50:51], v[68:69], -v[26:27]
	v_fma_f64 v[6:7], v[82:83], s[14:15], v[6:7]
	v_add_f64 v[20:21], v[78:79], v[20:21]
	v_and_b32_e32 v26, 1, v42
	v_lshlrev_b32_e32 v27, 30, v28
	v_fma_f64 v[24:25], v[24:25], v[46:47], v[58:59]
	v_xor_b32_e32 v17, 0x80000000, v17
	v_cmp_eq_u32_e32 vcc_lo, 0, v26
	v_and_b32_e32 v26, 1, v28
	v_fma_f64 v[37:38], v[52:53], v[54:55], v[37:38]
	v_cndmask_b32_e32 v22, v22, v39, vcc_lo
	v_and_b32_e32 v39, 0x80000000, v27
	v_cmp_eq_u32_e64 s0, 0, v26
	v_and_b32_e32 v26, 1, v41
	v_fma_f64 v[27:28], v[33:34], v[0:1], 0xc0240000
	v_add_f64 v[0:1], v[96:97], v[35:36]
	v_fma_f64 v[35:36], v[94:95], s[14:15], v[44:45]
	v_add_f64 v[4:5], v[4:5], -v[6:7]
	v_cndmask_b32_e64 v6, v17, v21, s0
	v_cndmask_b32_e64 v7, v16, v20, s0
	s_cselect_b32 s0, 0xffffff80, 0
	v_cmp_eq_u32_e64 s2, 0, v26
	v_ldexp_f64 v[20:21], v[24:25], s0
	v_xor_b32_e32 v17, v6, v39
	v_cndmask_b32_e64 v16, 0, v7, s1
	v_cmp_class_f64_e64 s0, v[31:32], 0x260
	v_lshlrev_b32_e32 v39, 30, v41
	v_add_f64 v[24:25], v[80:81], v[37:38]
	v_cndmask_b32_e64 v17, 0x7ff80000, v17, s1
	v_cndmask_b32_e64 v6, 0, v22, s1
	v_xor_b32_e32 v7, s7, v39
	v_and_b32_e32 v7, 0x80000000, v7
	v_mul_f64 v[16:17], v[27:28], v[16:17]
	v_add_f64 v[29:30], v[29:30], -v[35:36]
	v_cndmask_b32_e64 v1, v1, v5, s2
	v_cndmask_b32_e64 v0, v0, v4, s2
	s_mov_b32 s2, 0x78a05eaf
	s_mov_b32 s3, 0xbf90a5a3
	v_xor_b32_e32 v1, v1, v7
	v_cndmask_b32_e64 v0, 0, v0, s1
	v_lshlrev_b32_e32 v7, 30, v43
	v_cndmask_b32_e64 v5, v21, v32, s0
	v_cndmask_b32_e64 v4, v20, v31, s0
	;; [unrolled: 1-line block ×3, first 2 shown]
	v_and_b32_e32 v20, 1, v43
	v_xor_b32_e32 v7, s7, v7
	v_cmp_eq_u32_e64 s0, 0, v20
	v_fma_f64 v[0:1], v[4:5], v[0:1], -v[16:17]
	v_and_b32_e32 v4, 0x80000000, v7
	v_cndmask_b32_e64 v7, v25, v30, s0
	v_cndmask_b32_e64 v5, v24, v29, s0
	v_fma_f64 v[29:30], v[33:34], v[2:3], 0xc0240000
	v_xor_b32_e32 v16, 0x80000000, v23
	v_xor_b32_e32 v7, v7, v4
	v_cndmask_b32_e64 v4, 0, v5, s1
	v_cndmask_b32_e32 v16, v16, v40, vcc_lo
	v_cndmask_b32_e64 v5, 0x7ff80000, v7, s1
	v_lshlrev_b32_e32 v7, 30, v42
	v_mul_f64 v[2:3], v[27:28], v[4:5]
	v_and_b32_e32 v7, 0x80000000, v7
	v_mul_f64 v[4:5], v[0:1], v[0:1]
	v_xor_b32_e32 v7, v16, v7
	v_cndmask_b32_e64 v7, 0x7ff80000, v7, s1
	v_fma_f64 v[6:7], 0x408f4000, v[6:7], v[2:3]
	v_fma_f64 v[2:3], v[29:30], v[29:30], v[4:5]
	v_add_f64 v[4:5], s[8:9], s[8:9]
	buffer_store_dword v4, off, s[100:103], 0 offset:184 ; 4-byte Folded Spill
	buffer_store_dword v5, off, s[100:103], 0 offset:188 ; 4-byte Folded Spill
	v_fma_f64 v[2:3], v[6:7], v[6:7], v[2:3]
	v_fma_f64 v[2:3], -s[8:9], s[8:9], v[2:3]
	v_mul_f64 v[16:17], v[2:3], v[2:3]
	v_mul_f64 v[4:5], v[4:5], v[6:7]
	v_fma_f64 v[4:5], v[4:5], v[4:5], v[16:17]
	v_cmp_gt_f64_e32 vcc_lo, 0x10000000, v[4:5]
	v_cndmask_b32_e64 v16, 0, 0x100, vcc_lo
	v_ldexp_f64 v[4:5], v[4:5], v16
	v_rsq_f64_e32 v[16:17], v[4:5]
	v_mul_f64 v[20:21], v[4:5], v[16:17]
	v_mul_f64 v[16:17], v[16:17], 0.5
	v_fma_f64 v[22:23], -v[16:17], v[20:21], 0.5
	v_fma_f64 v[20:21], v[20:21], v[22:23], v[20:21]
	v_fma_f64 v[16:17], v[16:17], v[22:23], v[16:17]
	v_fma_f64 v[22:23], -v[20:21], v[20:21], v[4:5]
	v_fma_f64 v[20:21], v[22:23], v[16:17], v[20:21]
	v_fma_f64 v[22:23], -v[20:21], v[20:21], v[4:5]
	v_fma_f64 v[16:17], v[22:23], v[16:17], v[20:21]
	v_cndmask_b32_e64 v20, 0, 0xffffff80, vcc_lo
	v_cmp_class_f64_e64 vcc_lo, v[4:5], 0x260
	v_ldexp_f64 v[16:17], v[16:17], v20
	v_cndmask_b32_e32 v5, v17, v5, vcc_lo
	v_cndmask_b32_e32 v4, v16, v4, vcc_lo
	v_add_f64 v[2:3], v[2:3], v[4:5]
	v_mul_f64 v[2:3], v[2:3], 0.5
	v_cmp_gt_f64_e32 vcc_lo, 0x10000000, v[2:3]
	v_cndmask_b32_e64 v4, 0, 0x100, vcc_lo
	v_ldexp_f64 v[2:3], v[2:3], v4
	v_rsq_f64_e32 v[4:5], v[2:3]
	v_mul_f64 v[16:17], v[2:3], v[4:5]
	v_mul_f64 v[4:5], v[4:5], 0.5
	v_fma_f64 v[20:21], -v[4:5], v[16:17], 0.5
	v_fma_f64 v[16:17], v[16:17], v[20:21], v[16:17]
	v_fma_f64 v[4:5], v[4:5], v[20:21], v[4:5]
	v_fma_f64 v[20:21], -v[16:17], v[16:17], v[2:3]
	v_fma_f64 v[16:17], v[20:21], v[4:5], v[16:17]
	v_fma_f64 v[20:21], -v[16:17], v[16:17], v[2:3]
	v_fma_f64 v[4:5], v[20:21], v[4:5], v[16:17]
	v_cndmask_b32_e64 v16, 0, 0xffffff80, vcc_lo
	v_cmp_class_f64_e64 vcc_lo, v[2:3], 0x260
	v_ldexp_f64 v[4:5], v[4:5], v16
	v_cndmask_b32_e32 v110, v5, v3, vcc_lo
	v_cndmask_b32_e32 v109, v4, v2, vcc_lo
	v_div_scale_f64 v[4:5], null, v[109:110], v[109:110], v[6:7]
	v_div_scale_f64 v[22:23], vcc_lo, v[6:7], v[109:110], v[6:7]
	v_rcp_f64_e32 v[16:17], v[4:5]
	v_fma_f64 v[20:21], -v[4:5], v[16:17], 1.0
	v_fma_f64 v[16:17], v[16:17], v[20:21], v[16:17]
	v_fma_f64 v[20:21], -v[4:5], v[16:17], 1.0
	v_fma_f64 v[16:17], v[16:17], v[20:21], v[16:17]
	v_mul_f64 v[20:21], v[22:23], v[16:17]
	v_fma_f64 v[4:5], -v[4:5], v[20:21], v[22:23]
	v_div_fmas_f64 v[4:5], v[4:5], v[16:17], v[20:21]
	v_div_fixup_f64 v[6:7], v[4:5], v[109:110], v[6:7]
	v_fma_f64 v[16:17], |v[6:7]|, -0.5, 0.5
	v_mul_f64 v[4:5], v[6:7], v[6:7]
	v_cmp_ge_f64_e64 vcc_lo, |v[6:7]|, 0.5
	v_cndmask_b32_e32 v5, v5, v17, vcc_lo
	v_cndmask_b32_e32 v4, v4, v16, vcc_lo
	v_fma_f64 v[20:21], v[4:5], s[10:11], s[2:3]
	s_mov_b32 s2, 0x37024d6a
	s_mov_b32 s3, 0x3f940521
	;; [unrolled: 1-line block ×4, first 2 shown]
	v_fma_f64 v[20:21], v[4:5], v[20:21], s[2:3]
	s_mov_b32 s2, 0x98a70509
	s_mov_b32 s3, 0x3f7ab3a0
	v_fma_f64 v[20:21], v[4:5], v[20:21], s[2:3]
	s_mov_b32 s2, 0xa300c8d2
	s_mov_b32 s3, 0x3f88ed60
	;; [unrolled: 3-line block ×10, first 2 shown]
	v_mul_f64 v[20:21], v[4:5], v[20:21]
	v_fma_f64 v[4:5], v[6:7], v[20:21], v[6:7]
	v_fma_f64 v[3:4], s[10:11], s[2:3], -v[4:5]
	s_and_saveexec_b32 s0, vcc_lo
	s_cbranch_execz .LBB1_20
; %bb.19:
	v_rsq_f64_e32 v[4:5], v[16:17]
	v_cmp_eq_f64_e32 vcc_lo, 0, v[16:17]
	s_mov_b32 s11, 0x3ffdd9ad
	v_mul_f64 v[22:23], v[16:17], v[4:5]
	v_mul_f64 v[4:5], v[4:5], 0.5
	v_fma_f64 v[24:25], -v[4:5], v[22:23], 0.5
	v_fma_f64 v[22:23], v[22:23], v[24:25], v[22:23]
	v_fma_f64 v[4:5], v[4:5], v[24:25], v[4:5]
	v_fma_f64 v[24:25], -v[22:23], v[22:23], v[16:17]
	v_fma_f64 v[4:5], v[24:25], v[4:5], v[22:23]
	v_cndmask_b32_e32 v5, v5, v17, vcc_lo
	v_cndmask_b32_e32 v4, v4, v16, vcc_lo
	v_add_f64 v[22:23], v[4:5], v[4:5]
	v_mul_f64 v[24:25], v[4:5], v[4:5]
	v_rcp_f64_e32 v[31:32], v[22:23]
	v_add_f64 v[33:34], v[16:17], -v[24:25]
	v_fma_f64 v[37:38], v[4:5], v[4:5], -v[24:25]
	v_add_f64 v[16:17], v[16:17], -v[33:34]
	v_fma_f64 v[35:36], -v[22:23], v[31:32], 1.0
	v_add_f64 v[16:17], v[16:17], -v[24:25]
	v_fma_f64 v[24:25], v[35:36], v[31:32], v[31:32]
	v_add_f64 v[16:17], v[16:17], -v[37:38]
	v_fma_f64 v[31:32], -v[22:23], v[24:25], 1.0
	v_add_f64 v[16:17], v[33:34], v[16:17]
	v_fma_f64 v[24:25], v[31:32], v[24:25], v[24:25]
	v_mul_f64 v[31:32], v[16:17], v[24:25]
	v_fma_f64 v[16:17], -v[22:23], v[31:32], v[16:17]
	v_fma_f64 v[16:17], v[16:17], v[24:25], v[31:32]
	v_cndmask_b32_e64 v17, v17, 0, vcc_lo
	v_cndmask_b32_e64 v16, v16, 0, vcc_lo
	v_cmp_gt_f64_e32 vcc_lo, 0, v[6:7]
	v_add_f64 v[22:23], v[4:5], v[16:17]
	v_add_f64 v[4:5], v[22:23], -v[4:5]
	v_add_f64 v[4:5], v[16:17], -v[4:5]
	v_fma_f64 v[16:17], v[22:23], v[20:21], v[22:23]
	v_fma_f64 v[4:5], v[22:23], v[20:21], v[4:5]
	v_mul_f64 v[16:17], v[16:17], -2.0
	v_add_f64 v[4:5], v[22:23], v[4:5]
	v_fma_f64 v[16:17], s[10:11], s[2:3], v[16:17]
	v_add_f64 v[4:5], v[4:5], v[4:5]
	v_cndmask_b32_e32 v2, v5, v17, vcc_lo
	v_cndmask_b32_e32 v3, v4, v16, vcc_lo
	v_cmp_neq_f64_e32 vcc_lo, -1.0, v[6:7]
	v_cndmask_b32_e32 v3, 0x54442d18, v3, vcc_lo
	v_cndmask_b32_e32 v2, 0x400921fb, v2, vcc_lo
	v_cmp_neq_f64_e32 vcc_lo, 1.0, v[6:7]
	v_cndmask_b32_e32 v4, 0, v2, vcc_lo
	v_cndmask_b32_e32 v3, 0, v3, vcc_lo
.LBB1_20:
	s_or_b32 exec_lo, exec_lo, s0
	v_cmp_ngt_f64_e64 s10, 0x41d00000, |v[3:4]|
	v_trig_preop_f64 v[57:58], |v[3:4]|, 0
	v_trig_preop_f64 v[22:23], |v[3:4]|, 1
	v_ldexp_f64 v[59:60], |v[3:4]|, 0xffffff80
	v_trig_preop_f64 v[20:21], |v[3:4]|, 2
	v_and_b32_e32 v88, 0x7fffffff, v4
                                        ; implicit-def: $vgpr81
                                        ; implicit-def: $vgpr24_vgpr25
                                        ; implicit-def: $vgpr31_vgpr32
	s_mov_b32 s0, exec_lo
	s_and_b32 s2, s0, s10
	buffer_store_dword v3, off, s[100:103], 0 ; 4-byte Folded Spill
	buffer_store_dword v4, off, s[100:103], 0 offset:4 ; 4-byte Folded Spill
	s_xor_b32 s0, s2, s0
	s_mov_b32 exec_lo, s2
	s_cbranch_execz .LBB1_22
; %bb.21:
	v_cmp_le_f64_e64 vcc_lo, 0x7b000000, |v[3:4]|
	v_mov_b32_e32 v45, 0
	s_mov_b32 s2, 0x54442d18
	s_mov_b32 s3, 0x3ff921fb
	;; [unrolled: 1-line block ×4, first 2 shown]
	v_cndmask_b32_e32 v7, v88, v60, vcc_lo
	v_cndmask_b32_e32 v6, v3, v59, vcc_lo
	s_clause 0x1
	buffer_load_dword v3, off, s[100:103], 0
	buffer_load_dword v4, off, s[100:103], 0 offset:4
	v_mul_f64 v[16:17], v[57:58], v[6:7]
	v_mul_f64 v[24:25], v[22:23], v[6:7]
	;; [unrolled: 1-line block ×3, first 2 shown]
	v_fma_f64 v[31:32], v[57:58], v[6:7], -v[16:17]
	v_fma_f64 v[43:44], v[22:23], v[6:7], -v[24:25]
	;; [unrolled: 1-line block ×3, first 2 shown]
	v_add_f64 v[33:34], v[24:25], v[31:32]
	v_add_f64 v[35:36], v[33:34], -v[24:25]
	v_add_f64 v[39:40], v[16:17], v[33:34]
	v_add_f64 v[37:38], v[33:34], -v[35:36]
	v_add_f64 v[31:32], v[31:32], -v[35:36]
	v_ldexp_f64 v[35:36], v[39:40], -2
	v_add_f64 v[16:17], v[39:40], -v[16:17]
	v_add_f64 v[24:25], v[24:25], -v[37:38]
	v_add_f64 v[37:38], v[41:42], v[43:44]
	v_cmp_neq_f64_e64 vcc_lo, 0x7ff00000, |v[35:36]|
	v_add_f64 v[16:17], v[33:34], -v[16:17]
	v_add_f64 v[24:25], v[31:32], v[24:25]
	v_fract_f64_e32 v[31:32], v[35:36]
	v_add_f64 v[33:34], v[37:38], v[24:25]
	v_ldexp_f64 v[31:32], v[31:32], 2
	v_add_f64 v[35:36], v[16:17], v[33:34]
	v_cndmask_b32_e32 v32, 0, v32, vcc_lo
	v_cndmask_b32_e32 v31, 0, v31, vcc_lo
	v_add_f64 v[39:40], v[35:36], v[31:32]
	v_add_f64 v[16:17], v[35:36], -v[16:17]
	v_cmp_gt_f64_e32 vcc_lo, 0, v[39:40]
	v_add_f64 v[39:40], v[37:38], -v[41:42]
	v_add_f64 v[16:17], v[33:34], -v[16:17]
	v_cndmask_b32_e64 v46, 0, 0x40100000, vcc_lo
	v_add_f64 v[50:51], v[37:38], -v[39:40]
	v_add_f64 v[39:40], v[43:44], -v[39:40]
	v_add_f64 v[31:32], v[31:32], v[45:46]
	v_add_f64 v[46:47], v[33:34], -v[37:38]
	v_add_f64 v[43:44], v[41:42], -v[50:51]
	v_add_f64 v[48:49], v[35:36], v[31:32]
	;; [unrolled: 3-line block ×3, first 2 shown]
	v_cvt_i32_f64_e32 v2, v[48:49]
	v_add_f64 v[37:38], v[37:38], -v[52:53]
	v_cvt_f64_i32_e32 v[46:47], v2
	v_add_f64 v[24:25], v[24:25], v[37:38]
	v_add_f64 v[31:32], v[31:32], -v[46:47]
	v_add_f64 v[24:25], v[39:40], v[24:25]
	v_add_f64 v[37:38], v[35:36], v[31:32]
	;; [unrolled: 1-line block ×3, first 2 shown]
	v_add_f64 v[24:25], v[37:38], -v[31:32]
	v_cmp_le_f64_e32 vcc_lo, 0.5, v[37:38]
	v_add_f64 v[6:7], v[16:17], v[6:7]
	v_add_f64 v[16:17], v[35:36], -v[24:25]
	v_cndmask_b32_e64 v46, 0, 0x3ff00000, vcc_lo
	v_add_co_ci_u32_e64 v81, null, 0, v2, vcc_lo
	v_add_f64 v[6:7], v[6:7], v[16:17]
	v_add_f64 v[16:17], v[37:38], -v[45:46]
	v_add_f64 v[24:25], v[16:17], v[6:7]
	v_mul_f64 v[31:32], v[24:25], s[2:3]
	v_add_f64 v[16:17], v[24:25], -v[16:17]
	v_fma_f64 v[33:34], v[24:25], s[2:3], -v[31:32]
	v_add_f64 v[6:7], v[6:7], -v[16:17]
	v_fma_f64 v[16:17], v[24:25], s[14:15], v[33:34]
	v_fma_f64 v[6:7], v[6:7], s[2:3], v[16:17]
	v_add_f64 v[24:25], v[31:32], v[6:7]
	v_add_f64 v[16:17], v[24:25], -v[31:32]
	v_add_f64 v[31:32], v[6:7], -v[16:17]
	s_andn2_saveexec_b32 s0, s0
	s_cbranch_execz .LBB1_24
	s_branch .LBB1_23
.LBB1_22:
	s_andn2_saveexec_b32 s0, s0
	s_cbranch_execz .LBB1_24
.LBB1_23:
	s_mov_b32 s2, 0x6dc9c883
	s_mov_b32 s3, 0x3fe45f30
	;; [unrolled: 1-line block ×3, first 2 shown]
	s_waitcnt vmcnt(0)
	v_mul_f64 v[6:7], |v[3:4]|, s[2:3]
	s_mov_b32 s2, 0x54442d18
	s_mov_b32 s3, 0xbff921fb
	;; [unrolled: 1-line block ×3, first 2 shown]
	v_rndne_f64_e32 v[6:7], v[6:7]
	v_fma_f64 v[16:17], v[6:7], s[2:3], |v[3:4]|
	v_mul_f64 v[24:25], v[6:7], s[14:15]
	s_mov_b32 s2, 0x252049c0
	s_mov_b32 s3, 0xb97b839a
	v_cvt_i32_f64_e32 v81, v[6:7]
	v_fma_f64 v[33:34], v[6:7], s[14:15], v[16:17]
	v_add_f64 v[31:32], v[16:17], v[24:25]
	s_mov_b32 s15, 0x3c91a626
	v_add_f64 v[16:17], v[16:17], -v[31:32]
	v_add_f64 v[31:32], v[31:32], -v[33:34]
	v_add_f64 v[16:17], v[16:17], v[24:25]
	v_fma_f64 v[24:25], v[6:7], s[14:15], v[24:25]
	v_add_f64 v[16:17], v[31:32], v[16:17]
	v_add_f64 v[16:17], v[16:17], -v[24:25]
	v_fma_f64 v[16:17], v[6:7], s[2:3], v[16:17]
	v_add_f64 v[24:25], v[33:34], v[16:17]
	v_add_f64 v[31:32], v[24:25], -v[33:34]
	v_add_f64 v[31:32], v[16:17], -v[31:32]
.LBB1_24:
	s_or_b32 exec_lo, exec_lo, s0
                                        ; implicit-def: $vgpr82
                                        ; implicit-def: $vgpr33_vgpr34
                                        ; implicit-def: $vgpr35_vgpr36
	s_and_saveexec_b32 s0, s10
	s_xor_b32 s0, exec_lo, s0
	s_cbranch_execz .LBB1_28
; %bb.25:
	s_waitcnt vmcnt(0)
	v_cmp_le_f64_e64 vcc_lo, 0x7b000000, |v[3:4]|
	s_mov_b32 s2, 0x54442d18
	s_mov_b32 s3, 0x3ff921fb
	;; [unrolled: 1-line block ×4, first 2 shown]
	v_cndmask_b32_e32 v7, v88, v60, vcc_lo
	v_cndmask_b32_e32 v6, v3, v59, vcc_lo
	v_mul_f64 v[33:34], v[57:58], v[6:7]
	v_mul_f64 v[16:17], v[22:23], v[6:7]
	v_fma_f64 v[35:36], v[57:58], v[6:7], -v[33:34]
	v_add_f64 v[37:38], v[16:17], v[35:36]
	v_add_f64 v[45:46], v[37:38], -v[16:17]
	v_add_f64 v[39:40], v[33:34], v[37:38]
	v_add_f64 v[35:36], v[35:36], -v[45:46]
	v_add_f64 v[45:46], v[37:38], -v[45:46]
	v_ldexp_f64 v[41:42], v[39:40], -2
	v_add_f64 v[33:34], v[39:40], -v[33:34]
	v_add_f64 v[45:46], v[16:17], -v[45:46]
	v_fma_f64 v[16:17], v[22:23], v[6:7], -v[16:17]
	v_add_f64 v[33:34], v[37:38], -v[33:34]
	v_fract_f64_e32 v[43:44], v[41:42]
	v_cmp_neq_f64_e64 vcc_lo, 0x7ff00000, |v[41:42]|
	v_add_f64 v[35:36], v[35:36], v[45:46]
	v_mul_f64 v[45:46], v[20:21], v[6:7]
	v_add_f64 v[47:48], v[45:46], v[16:17]
	v_fma_f64 v[6:7], v[20:21], v[6:7], -v[45:46]
	v_add_f64 v[49:50], v[47:48], v[35:36]
	v_add_f64 v[39:40], v[49:50], -v[47:48]
	v_add_f64 v[37:38], v[33:34], v[49:50]
	v_add_f64 v[35:36], v[35:36], -v[39:40]
	v_add_f64 v[39:40], v[49:50], -v[39:40]
	;; [unrolled: 1-line block ×5, first 2 shown]
	v_add_f64 v[35:36], v[35:36], v[39:40]
	v_add_f64 v[39:40], v[47:48], -v[45:46]
	v_add_f64 v[16:17], v[16:17], -v[39:40]
	;; [unrolled: 1-line block ×4, first 2 shown]
	v_add_f64 v[16:17], v[16:17], v[39:40]
	v_add_f64 v[16:17], v[16:17], v[35:36]
	;; [unrolled: 1-line block ×3, first 2 shown]
	v_ldexp_f64 v[16:17], v[43:44], 2
	v_add_f64 v[6:7], v[33:34], v[6:7]
	v_cndmask_b32_e32 v17, 0, v17, vcc_lo
	v_cndmask_b32_e32 v16, 0, v16, vcc_lo
	v_add_f64 v[33:34], v[37:38], v[16:17]
	v_cmp_gt_f64_e32 vcc_lo, 0, v[33:34]
	v_mov_b32_e32 v33, 0
	v_cndmask_b32_e64 v34, 0, 0x40100000, vcc_lo
	v_add_f64 v[16:17], v[16:17], v[33:34]
	v_add_f64 v[34:35], v[37:38], v[16:17]
	v_cvt_i32_f64_e32 v2, v[34:35]
	v_cvt_f64_i32_e32 v[34:35], v2
	v_add_f64 v[16:17], v[16:17], -v[34:35]
	v_add_f64 v[35:36], v[37:38], v[16:17]
	v_add_f64 v[16:17], v[35:36], -v[16:17]
	v_cmp_le_f64_e32 vcc_lo, 0.5, v[35:36]
	v_add_f64 v[16:17], v[37:38], -v[16:17]
	v_cndmask_b32_e64 v34, 0, 0x3ff00000, vcc_lo
	v_add_co_ci_u32_e64 v82, null, 0, v2, vcc_lo
	v_add_f64 v[6:7], v[6:7], v[16:17]
	v_add_f64 v[16:17], v[35:36], -v[33:34]
	v_add_f64 v[33:34], v[16:17], v[6:7]
	v_add_f64 v[16:17], v[33:34], -v[16:17]
	v_add_f64 v[6:7], v[6:7], -v[16:17]
	v_mul_f64 v[16:17], v[33:34], s[2:3]
	v_fma_f64 v[35:36], v[33:34], s[2:3], -v[16:17]
	v_fma_f64 v[33:34], v[33:34], s[14:15], v[35:36]
	v_fma_f64 v[6:7], v[6:7], s[2:3], v[33:34]
	v_add_f64 v[33:34], v[16:17], v[6:7]
	v_add_f64 v[16:17], v[33:34], -v[16:17]
	v_add_f64 v[35:36], v[6:7], -v[16:17]
	s_andn2_saveexec_b32 s0, s0
	s_cbranch_execnz .LBB1_29
.LBB1_26:
	s_or_b32 exec_lo, exec_lo, s0
	s_and_b32 vcc_lo, exec_lo, s22
	s_cbranch_vccz .LBB1_30
.LBB1_27:
	v_cmp_le_f64_e64 vcc_lo, 0x7b000000, |s[6:7]|
	s_and_b32 s0, s7, 0x7fffffff
	s_mov_b32 s2, 0
	s_mov_b32 s14, 0x54442d18
	;; [unrolled: 1-line block ×5, first 2 shown]
	v_cndmask_b32_e32 v7, s0, v15, vcc_lo
	v_cndmask_b32_e32 v6, s6, v14, vcc_lo
	v_mul_f64 v[16:17], v[12:13], v[6:7]
	v_mul_f64 v[37:38], v[10:11], v[6:7]
	;; [unrolled: 1-line block ×3, first 2 shown]
	v_fma_f64 v[39:40], v[12:13], v[6:7], -v[16:17]
	v_fma_f64 v[51:52], v[10:11], v[6:7], -v[37:38]
	;; [unrolled: 1-line block ×3, first 2 shown]
	v_add_f64 v[41:42], v[37:38], v[39:40]
	v_add_f64 v[43:44], v[41:42], -v[37:38]
	v_add_f64 v[47:48], v[16:17], v[41:42]
	v_add_f64 v[45:46], v[41:42], -v[43:44]
	v_add_f64 v[39:40], v[39:40], -v[43:44]
	v_ldexp_f64 v[43:44], v[47:48], -2
	v_add_f64 v[16:17], v[47:48], -v[16:17]
	v_add_f64 v[37:38], v[37:38], -v[45:46]
	v_add_f64 v[45:46], v[49:50], v[51:52]
	v_cmp_neq_f64_e64 vcc_lo, 0x7ff00000, |v[43:44]|
	v_add_f64 v[16:17], v[41:42], -v[16:17]
	v_add_f64 v[37:38], v[39:40], v[37:38]
	v_fract_f64_e32 v[39:40], v[43:44]
	v_add_f64 v[41:42], v[45:46], v[37:38]
	v_ldexp_f64 v[39:40], v[39:40], 2
	v_add_f64 v[43:44], v[16:17], v[41:42]
	v_cndmask_b32_e32 v40, 0, v40, vcc_lo
	v_cndmask_b32_e32 v39, 0, v39, vcc_lo
	v_add_f64 v[53:54], v[41:42], -v[45:46]
	v_add_f64 v[47:48], v[43:44], v[39:40]
	v_add_f64 v[16:17], v[43:44], -v[16:17]
	v_add_f64 v[63:64], v[41:42], -v[53:54]
	;; [unrolled: 1-line block ×3, first 2 shown]
	v_cmp_gt_f64_e32 vcc_lo, 0, v[47:48]
	v_add_f64 v[47:48], v[45:46], -v[49:50]
	v_add_f64 v[16:17], v[41:42], -v[16:17]
	s_and_b32 s0, vcc_lo, exec_lo
	s_cselect_b32 s3, 0x40100000, 0
	v_add_f64 v[61:62], v[45:46], -v[47:48]
	v_add_f64 v[39:40], v[39:40], s[2:3]
	v_add_f64 v[47:48], v[51:52], -v[47:48]
	v_add_f64 v[45:46], v[45:46], -v[63:64]
	;; [unrolled: 1-line block ×3, first 2 shown]
	v_add_f64 v[55:56], v[43:44], v[39:40]
	v_add_f64 v[37:38], v[37:38], v[45:46]
	;; [unrolled: 1-line block ×3, first 2 shown]
	v_cvt_i32_f64_e32 v2, v[55:56]
	v_add_f64 v[37:38], v[47:48], v[37:38]
	v_cvt_f64_i32_e32 v[53:54], v2
	v_add_f64 v[6:7], v[6:7], v[37:38]
	v_add_f64 v[39:40], v[39:40], -v[53:54]
	v_add_f64 v[6:7], v[16:17], v[6:7]
	v_add_f64 v[45:46], v[43:44], v[39:40]
	v_add_f64 v[37:38], v[45:46], -v[39:40]
	v_cmp_le_f64_e32 vcc_lo, 0.5, v[45:46]
	v_add_f64 v[16:17], v[43:44], -v[37:38]
	s_and_b32 s0, vcc_lo, exec_lo
	s_cselect_b32 s3, 0x3ff00000, 0
	v_add_co_ci_u32_e64 v86, null, 0, v2, vcc_lo
	v_add_f64 v[6:7], v[6:7], v[16:17]
	v_add_f64 v[16:17], v[45:46], -s[2:3]
	v_add_f64 v[37:38], v[16:17], v[6:7]
	v_mul_f64 v[39:40], v[37:38], s[14:15]
	v_add_f64 v[16:17], v[37:38], -v[16:17]
	v_fma_f64 v[41:42], v[37:38], s[14:15], -v[39:40]
	v_add_f64 v[6:7], v[6:7], -v[16:17]
	v_fma_f64 v[16:17], v[37:38], s[16:17], v[41:42]
	v_fma_f64 v[6:7], v[6:7], s[14:15], v[16:17]
	v_add_f64 v[47:48], v[39:40], v[6:7]
	v_add_f64 v[16:17], v[47:48], -v[39:40]
	v_add_f64 v[49:50], v[6:7], -v[16:17]
	s_cbranch_execz .LBB1_31
	s_branch .LBB1_32
.LBB1_28:
	s_andn2_saveexec_b32 s0, s0
	s_cbranch_execz .LBB1_26
.LBB1_29:
	s_mov_b32 s2, 0x6dc9c883
	s_mov_b32 s3, 0x3fe45f30
	;; [unrolled: 1-line block ×3, first 2 shown]
	s_waitcnt vmcnt(0)
	v_mul_f64 v[6:7], |v[3:4]|, s[2:3]
	s_mov_b32 s2, 0x54442d18
	s_mov_b32 s3, 0xbff921fb
	s_mov_b32 s14, 0x33145c00
	v_rndne_f64_e32 v[6:7], v[6:7]
	v_fma_f64 v[16:17], v[6:7], s[2:3], |v[3:4]|
	v_mul_f64 v[33:34], v[6:7], s[14:15]
	s_mov_b32 s2, 0x252049c0
	s_mov_b32 s3, 0xb97b839a
	v_cvt_i32_f64_e32 v82, v[6:7]
	v_fma_f64 v[37:38], v[6:7], s[14:15], v[16:17]
	v_add_f64 v[35:36], v[16:17], v[33:34]
	s_mov_b32 s15, 0x3c91a626
	v_add_f64 v[16:17], v[16:17], -v[35:36]
	v_add_f64 v[35:36], v[35:36], -v[37:38]
	v_add_f64 v[16:17], v[16:17], v[33:34]
	v_fma_f64 v[33:34], v[6:7], s[14:15], v[33:34]
	v_add_f64 v[16:17], v[35:36], v[16:17]
	v_add_f64 v[16:17], v[16:17], -v[33:34]
	v_fma_f64 v[16:17], v[6:7], s[2:3], v[16:17]
	v_add_f64 v[33:34], v[37:38], v[16:17]
	v_add_f64 v[35:36], v[33:34], -v[37:38]
	v_add_f64 v[35:36], v[16:17], -v[35:36]
	s_or_b32 exec_lo, exec_lo, s0
	s_and_b32 vcc_lo, exec_lo, s22
	s_cbranch_vccnz .LBB1_27
.LBB1_30:
                                        ; implicit-def: $vgpr86
                                        ; implicit-def: $vgpr47_vgpr48
                                        ; implicit-def: $vgpr49_vgpr50
.LBB1_31:
	s_mov_b32 s2, 0x6dc9c883
	s_mov_b32 s3, 0x3fe45f30
	;; [unrolled: 1-line block ×3, first 2 shown]
	v_mul_f64 v[6:7], |s[6:7]|, s[2:3]
	s_mov_b32 s2, 0x54442d18
	s_mov_b32 s3, 0xbff921fb
	s_mov_b32 s14, 0x33145c00
	v_rndne_f64_e32 v[6:7], v[6:7]
	v_fma_f64 v[16:17], v[6:7], s[2:3], |s[6:7]|
	v_mul_f64 v[37:38], v[6:7], s[14:15]
	s_mov_b32 s2, 0x252049c0
	s_mov_b32 s3, 0xb97b839a
	v_cvt_i32_f64_e32 v86, v[6:7]
	v_fma_f64 v[41:42], v[6:7], s[14:15], v[16:17]
	v_add_f64 v[39:40], v[16:17], v[37:38]
	s_mov_b32 s15, 0x3c91a626
	v_add_f64 v[16:17], v[16:17], -v[39:40]
	v_add_f64 v[39:40], v[39:40], -v[41:42]
	v_add_f64 v[16:17], v[16:17], v[37:38]
	v_fma_f64 v[37:38], v[6:7], s[14:15], v[37:38]
	v_add_f64 v[16:17], v[39:40], v[16:17]
	v_add_f64 v[16:17], v[16:17], -v[37:38]
	v_fma_f64 v[16:17], v[6:7], s[2:3], v[16:17]
	v_add_f64 v[47:48], v[41:42], v[16:17]
	v_add_f64 v[37:38], v[47:48], -v[41:42]
	v_add_f64 v[49:50], v[16:17], -v[37:38]
.LBB1_32:
	v_max_f64 v[6:7], |v[29:30]|, |v[29:30]|
	v_max_f64 v[16:17], |v[0:1]|, |v[0:1]|
	s_mov_b32 s2, 0xbd3237f4
	s_mov_b32 s14, 0xb5e68a13
	;; [unrolled: 1-line block ×4, first 2 shown]
	v_cmp_eq_f64_e64 s0, 0, v[29:30]
	v_cmp_class_f64_e64 s11, v[29:30], 0x204
	s_waitcnt vmcnt(1)
	v_ashrrev_i32_e32 v3, 31, v1
	v_mov_b32_e32 v2, 0x7f3321d2
                                        ; implicit-def: $vgpr87
                                        ; implicit-def: $vgpr53_vgpr54
                                        ; implicit-def: $vgpr55_vgpr56
	s_waitcnt vmcnt(0)
	v_and_b32_e32 v4, 0x400921fb, v3
	v_and_b32_e32 v3, 0x54442d18, v3
	v_max_f64 v[37:38], v[16:17], v[6:7]
	v_min_f64 v[6:7], v[16:17], v[6:7]
	v_div_scale_f64 v[16:17], null, v[37:38], v[37:38], v[6:7]
	v_div_scale_f64 v[43:44], vcc_lo, v[6:7], v[37:38], v[6:7]
	v_rcp_f64_e32 v[39:40], v[16:17]
	v_fma_f64 v[41:42], -v[16:17], v[39:40], 1.0
	v_fma_f64 v[39:40], v[39:40], v[41:42], v[39:40]
	v_fma_f64 v[41:42], -v[16:17], v[39:40], 1.0
	v_fma_f64 v[39:40], v[39:40], v[41:42], v[39:40]
	v_mul_f64 v[41:42], v[43:44], v[39:40]
	v_fma_f64 v[16:17], -v[16:17], v[41:42], v[43:44]
	v_div_fmas_f64 v[16:17], v[16:17], v[39:40], v[41:42]
	v_cmp_lt_f64_e64 vcc_lo, |v[0:1]|, |v[29:30]|
	v_div_fixup_f64 v[6:7], v[16:17], v[37:38], v[6:7]
	v_mul_f64 v[16:17], v[6:7], v[6:7]
	v_fma_f64 v[37:38], v[16:17], s[14:15], s[2:3]
	s_mov_b32 s2, 0x69efb384
	s_mov_b32 s3, 0x3f4b2bb0
	;; [unrolled: 1-line block ×3, first 2 shown]
	v_fma_f64 v[37:38], v[16:17], v[37:38], s[2:3]
	s_mov_b32 s2, 0xaf56de9b
	s_mov_b32 s3, 0xbf67952d
	v_fma_f64 v[37:38], v[16:17], v[37:38], s[2:3]
	s_mov_b32 s2, 0xa595c56f
	s_mov_b32 s3, 0x3f7d6d43
	;; [unrolled: 3-line block ×18, first 2 shown]
	s_mov_b32 s14, s2
	v_mul_f64 v[16:17], v[16:17], v[37:38]
	v_fma_f64 v[6:7], v[6:7], v[16:17], v[6:7]
	v_add_f64 v[16:17], -v[6:7], s[2:3]
	v_cndmask_b32_e32 v7, v7, v17, vcc_lo
	v_cndmask_b32_e32 v6, v6, v16, vcc_lo
	v_cmp_gt_i32_e32 vcc_lo, 0, v1
	v_add_f64 v[16:17], -v[6:7], s[14:15]
	v_cmp_class_f64_e64 s14, v[0:1], 0x204
	v_cndmask_b32_e32 v2, 0x54442d18, v2, vcc_lo
	v_cndmask_b32_e32 v5, v7, v17, vcc_lo
	v_mov_b32_e32 v7, 0x4002d97c
	v_cndmask_b32_e32 v6, v6, v16, vcc_lo
	v_cndmask_b32_e64 v4, v5, v4, s0
	v_cndmask_b32_e32 v7, 0x3fe921fb, v7, vcc_lo
	v_cndmask_b32_e64 v3, v6, v3, s0
	s_and_b32 vcc_lo, s11, s14
	v_bfi_b32 v5, 0x7fffffff, v7, v30
	v_cndmask_b32_e32 v2, v3, v2, vcc_lo
	v_cndmask_b32_e32 v3, v4, v5, vcc_lo
	v_cmp_o_f64_e32 vcc_lo, v[0:1], v[29:30]
	v_cndmask_b32_e32 v3, 0x7ff80000, v3, vcc_lo
	v_cndmask_b32_e32 v2, 0, v2, vcc_lo
	v_mov_b32_e32 v5, v3
	v_cmp_ngt_f64_e64 s0, 0x41d00000, |v[2:3]|
	v_trig_preop_f64 v[73:74], |v[2:3]|, 0
	v_trig_preop_f64 v[16:17], |v[2:3]|, 1
	v_ldexp_f64 v[75:76], |v[2:3]|, 0xffffff80
	v_trig_preop_f64 v[0:1], |v[2:3]|, 2
	v_mov_b32_e32 v4, v2
	v_and_b32_e32 v26, 0x7fffffff, v3
	s_and_saveexec_b32 s11, s0
	s_xor_b32 s11, exec_lo, s11
	s_cbranch_execz .LBB1_36
; %bb.33:
	v_mov_b32_e32 v2, v4
	v_mov_b32_e32 v3, v5
	s_mov_b32 s14, 0x33145c07
	s_mov_b32 s15, 0x3c91a626
	v_cmp_le_f64_e64 vcc_lo, 0x7b000000, |v[2:3]|
	v_cndmask_b32_e32 v7, v26, v76, vcc_lo
	v_cndmask_b32_e32 v6, v2, v75, vcc_lo
	v_mul_f64 v[39:40], v[73:74], v[6:7]
	v_mul_f64 v[37:38], v[16:17], v[6:7]
	v_fma_f64 v[41:42], v[73:74], v[6:7], -v[39:40]
	v_add_f64 v[43:44], v[37:38], v[41:42]
	v_add_f64 v[55:56], v[43:44], -v[37:38]
	v_add_f64 v[45:46], v[39:40], v[43:44]
	v_add_f64 v[41:42], v[41:42], -v[55:56]
	v_add_f64 v[55:56], v[43:44], -v[55:56]
	v_ldexp_f64 v[51:52], v[45:46], -2
	v_add_f64 v[39:40], v[45:46], -v[39:40]
	v_add_f64 v[55:56], v[37:38], -v[55:56]
	v_fma_f64 v[37:38], v[16:17], v[6:7], -v[37:38]
	v_add_f64 v[39:40], v[43:44], -v[39:40]
	v_fract_f64_e32 v[53:54], v[51:52]
	v_cmp_neq_f64_e64 vcc_lo, 0x7ff00000, |v[51:52]|
	v_add_f64 v[41:42], v[41:42], v[55:56]
	v_mul_f64 v[55:56], v[0:1], v[6:7]
	v_add_f64 v[61:62], v[55:56], v[37:38]
	v_fma_f64 v[6:7], v[0:1], v[6:7], -v[55:56]
	v_add_f64 v[63:64], v[61:62], v[41:42]
	v_add_f64 v[45:46], v[63:64], -v[61:62]
	v_add_f64 v[43:44], v[39:40], v[63:64]
	v_add_f64 v[41:42], v[41:42], -v[45:46]
	v_add_f64 v[45:46], v[63:64], -v[45:46]
	;; [unrolled: 1-line block ×5, first 2 shown]
	v_add_f64 v[41:42], v[41:42], v[45:46]
	v_add_f64 v[45:46], v[61:62], -v[55:56]
	v_add_f64 v[37:38], v[37:38], -v[45:46]
	;; [unrolled: 1-line block ×4, first 2 shown]
	v_add_f64 v[37:38], v[37:38], v[45:46]
	v_add_f64 v[37:38], v[37:38], v[41:42]
	v_add_f64 v[6:7], v[6:7], v[37:38]
	v_ldexp_f64 v[37:38], v[53:54], 2
	v_add_f64 v[6:7], v[39:40], v[6:7]
	v_cndmask_b32_e32 v38, 0, v38, vcc_lo
	v_cndmask_b32_e32 v37, 0, v37, vcc_lo
	v_add_f64 v[39:40], v[43:44], v[37:38]
	v_cmp_gt_f64_e32 vcc_lo, 0, v[39:40]
	v_mov_b32_e32 v39, 0
	v_cndmask_b32_e64 v40, 0, 0x40100000, vcc_lo
	v_add_f64 v[37:38], v[37:38], v[39:40]
	v_add_f64 v[40:41], v[43:44], v[37:38]
	v_cvt_i32_f64_e32 v2, v[40:41]
	v_cvt_f64_i32_e32 v[40:41], v2
	v_add_f64 v[37:38], v[37:38], -v[40:41]
	v_add_f64 v[41:42], v[43:44], v[37:38]
	v_add_f64 v[37:38], v[41:42], -v[37:38]
	v_cmp_le_f64_e32 vcc_lo, 0.5, v[41:42]
	v_add_f64 v[37:38], v[43:44], -v[37:38]
	v_cndmask_b32_e64 v40, 0, 0x3ff00000, vcc_lo
	v_add_co_ci_u32_e64 v87, null, 0, v2, vcc_lo
	v_add_f64 v[6:7], v[6:7], v[37:38]
	v_add_f64 v[37:38], v[41:42], -v[39:40]
	v_add_f64 v[39:40], v[37:38], v[6:7]
	v_add_f64 v[37:38], v[39:40], -v[37:38]
	v_add_f64 v[6:7], v[6:7], -v[37:38]
	v_mul_f64 v[37:38], v[39:40], s[2:3]
	v_fma_f64 v[41:42], v[39:40], s[2:3], -v[37:38]
	v_fma_f64 v[39:40], v[39:40], s[14:15], v[41:42]
	v_fma_f64 v[6:7], v[6:7], s[2:3], v[39:40]
	v_add_f64 v[53:54], v[37:38], v[6:7]
	v_add_f64 v[37:38], v[53:54], -v[37:38]
	v_add_f64 v[55:56], v[6:7], -v[37:38]
	s_andn2_saveexec_b32 s2, s11
	s_cbranch_execnz .LBB1_37
.LBB1_34:
	s_or_b32 exec_lo, exec_lo, s2
	s_and_b32 vcc_lo, exec_lo, s22
	s_cbranch_vccz .LBB1_38
.LBB1_35:
	v_cmp_le_f64_e64 vcc_lo, 0x7b000000, |s[6:7]|
	s_and_b32 s2, s7, 0x7fffffff
	s_mov_b32 s14, 0x54442d18
	s_mov_b32 s15, 0x3ff921fb
	;; [unrolled: 1-line block ×4, first 2 shown]
	v_cndmask_b32_e32 v7, s2, v15, vcc_lo
	v_cndmask_b32_e32 v6, s6, v14, vcc_lo
	s_mov_b32 s2, 0
	v_mul_f64 v[37:38], v[12:13], v[6:7]
	v_mul_f64 v[39:40], v[10:11], v[6:7]
	;; [unrolled: 1-line block ×3, first 2 shown]
	v_fma_f64 v[41:42], v[12:13], v[6:7], -v[37:38]
	v_fma_f64 v[65:66], v[10:11], v[6:7], -v[39:40]
	;; [unrolled: 1-line block ×3, first 2 shown]
	v_add_f64 v[43:44], v[39:40], v[41:42]
	v_add_f64 v[45:46], v[43:44], -v[39:40]
	v_add_f64 v[61:62], v[37:38], v[43:44]
	v_add_f64 v[51:52], v[43:44], -v[45:46]
	v_add_f64 v[41:42], v[41:42], -v[45:46]
	v_ldexp_f64 v[45:46], v[61:62], -2
	v_add_f64 v[37:38], v[61:62], -v[37:38]
	v_add_f64 v[39:40], v[39:40], -v[51:52]
	v_add_f64 v[51:52], v[63:64], v[65:66]
	v_cmp_neq_f64_e64 vcc_lo, 0x7ff00000, |v[45:46]|
	v_add_f64 v[37:38], v[43:44], -v[37:38]
	v_add_f64 v[39:40], v[41:42], v[39:40]
	v_fract_f64_e32 v[41:42], v[45:46]
	v_add_f64 v[43:44], v[51:52], v[39:40]
	v_ldexp_f64 v[41:42], v[41:42], 2
	v_add_f64 v[45:46], v[37:38], v[43:44]
	v_cndmask_b32_e32 v42, 0, v42, vcc_lo
	v_cndmask_b32_e32 v41, 0, v41, vcc_lo
	v_add_f64 v[67:68], v[43:44], -v[51:52]
	v_add_f64 v[61:62], v[45:46], v[41:42]
	v_add_f64 v[37:38], v[45:46], -v[37:38]
	v_add_f64 v[77:78], v[43:44], -v[67:68]
	v_add_f64 v[39:40], v[39:40], -v[67:68]
	v_cmp_gt_f64_e32 vcc_lo, 0, v[61:62]
	v_add_f64 v[61:62], v[51:52], -v[63:64]
	v_add_f64 v[37:38], v[43:44], -v[37:38]
	s_and_b32 s3, vcc_lo, exec_lo
	s_cselect_b32 s3, 0x40100000, 0
	v_add_f64 v[71:72], v[51:52], -v[61:62]
	v_add_f64 v[41:42], v[41:42], s[2:3]
	v_add_f64 v[61:62], v[65:66], -v[61:62]
	v_add_f64 v[51:52], v[51:52], -v[77:78]
	;; [unrolled: 1-line block ×3, first 2 shown]
	v_add_f64 v[69:70], v[45:46], v[41:42]
	v_add_f64 v[39:40], v[39:40], v[51:52]
	v_add_f64 v[61:62], v[61:62], v[65:66]
	v_cvt_i32_f64_e32 v2, v[69:70]
	v_add_f64 v[39:40], v[61:62], v[39:40]
	v_cvt_f64_i32_e32 v[67:68], v2
	v_add_f64 v[6:7], v[6:7], v[39:40]
	v_add_f64 v[41:42], v[41:42], -v[67:68]
	v_add_f64 v[6:7], v[37:38], v[6:7]
	v_add_f64 v[51:52], v[45:46], v[41:42]
	v_add_f64 v[39:40], v[51:52], -v[41:42]
	v_cmp_le_f64_e32 vcc_lo, 0.5, v[51:52]
	v_add_f64 v[37:38], v[45:46], -v[39:40]
	s_and_b32 s3, vcc_lo, exec_lo
	s_cselect_b32 s3, 0x3ff00000, 0
	v_add_co_ci_u32_e64 v84, null, 0, v2, vcc_lo
	v_add_f64 v[6:7], v[6:7], v[37:38]
	v_add_f64 v[37:38], v[51:52], -s[2:3]
	v_add_f64 v[39:40], v[37:38], v[6:7]
	v_mul_f64 v[41:42], v[39:40], s[14:15]
	v_add_f64 v[37:38], v[39:40], -v[37:38]
	v_fma_f64 v[43:44], v[39:40], s[14:15], -v[41:42]
	v_add_f64 v[6:7], v[6:7], -v[37:38]
	v_fma_f64 v[37:38], v[39:40], s[16:17], v[43:44]
	v_fma_f64 v[6:7], v[6:7], s[14:15], v[37:38]
	v_add_f64 v[37:38], v[41:42], v[6:7]
	v_add_f64 v[39:40], v[37:38], -v[41:42]
	v_add_f64 v[39:40], v[6:7], -v[39:40]
	s_cbranch_execz .LBB1_39
	s_branch .LBB1_40
.LBB1_36:
	s_andn2_saveexec_b32 s2, s11
	s_cbranch_execz .LBB1_34
.LBB1_37:
	v_mov_b32_e32 v2, v4
	v_mov_b32_e32 v3, v5
	s_mov_b32 s14, 0x6dc9c883
	s_mov_b32 s15, 0x3fe45f30
	;; [unrolled: 1-line block ×4, first 2 shown]
	v_mul_f64 v[6:7], |v[2:3]|, s[14:15]
	s_mov_b32 s14, 0x54442d18
	s_mov_b32 s15, 0xbff921fb
	v_rndne_f64_e32 v[6:7], v[6:7]
	v_fma_f64 v[37:38], v[6:7], s[14:15], |v[2:3]|
	v_mul_f64 v[39:40], v[6:7], s[16:17]
	s_mov_b32 s14, 0x252049c0
	s_mov_b32 s15, 0xb97b839a
	v_cvt_i32_f64_e32 v87, v[6:7]
	v_fma_f64 v[43:44], v[6:7], s[16:17], v[37:38]
	v_add_f64 v[41:42], v[37:38], v[39:40]
	s_mov_b32 s17, 0x3c91a626
	v_add_f64 v[37:38], v[37:38], -v[41:42]
	v_add_f64 v[41:42], v[41:42], -v[43:44]
	v_add_f64 v[37:38], v[37:38], v[39:40]
	v_fma_f64 v[39:40], v[6:7], s[16:17], v[39:40]
	v_add_f64 v[37:38], v[41:42], v[37:38]
	v_add_f64 v[37:38], v[37:38], -v[39:40]
	v_fma_f64 v[37:38], v[6:7], s[14:15], v[37:38]
	v_add_f64 v[53:54], v[43:44], v[37:38]
	v_add_f64 v[39:40], v[53:54], -v[43:44]
	v_add_f64 v[55:56], v[37:38], -v[39:40]
	s_or_b32 exec_lo, exec_lo, s2
	s_and_b32 vcc_lo, exec_lo, s22
	s_cbranch_vccnz .LBB1_35
.LBB1_38:
                                        ; implicit-def: $vgpr84
                                        ; implicit-def: $vgpr37_vgpr38
                                        ; implicit-def: $vgpr39_vgpr40
.LBB1_39:
	s_mov_b32 s2, 0x6dc9c883
	s_mov_b32 s3, 0x3fe45f30
	;; [unrolled: 1-line block ×3, first 2 shown]
	v_mul_f64 v[6:7], |s[6:7]|, s[2:3]
	s_mov_b32 s2, 0x54442d18
	s_mov_b32 s3, 0xbff921fb
	;; [unrolled: 1-line block ×3, first 2 shown]
	v_rndne_f64_e32 v[6:7], v[6:7]
	v_fma_f64 v[37:38], v[6:7], s[2:3], |s[6:7]|
	v_mul_f64 v[39:40], v[6:7], s[14:15]
	s_mov_b32 s2, 0x252049c0
	s_mov_b32 s3, 0xb97b839a
	v_cvt_i32_f64_e32 v84, v[6:7]
	v_fma_f64 v[43:44], v[6:7], s[14:15], v[37:38]
	v_add_f64 v[41:42], v[37:38], v[39:40]
	s_mov_b32 s15, 0x3c91a626
	v_add_f64 v[37:38], v[37:38], -v[41:42]
	v_add_f64 v[41:42], v[41:42], -v[43:44]
	v_add_f64 v[37:38], v[37:38], v[39:40]
	v_fma_f64 v[39:40], v[6:7], s[14:15], v[39:40]
	v_add_f64 v[37:38], v[41:42], v[37:38]
	v_add_f64 v[37:38], v[37:38], -v[39:40]
	v_fma_f64 v[39:40], v[6:7], s[2:3], v[37:38]
	v_add_f64 v[37:38], v[43:44], v[39:40]
	v_add_f64 v[41:42], v[37:38], -v[43:44]
	v_add_f64 v[39:40], v[39:40], -v[41:42]
.LBB1_40:
                                        ; implicit-def: $vgpr85
                                        ; implicit-def: $vgpr43_vgpr44
                                        ; implicit-def: $vgpr45_vgpr46
	s_and_saveexec_b32 s2, s10
	s_xor_b32 s2, exec_lo, s2
	s_cbranch_execz .LBB1_42
; %bb.41:
	s_clause 0x1
	buffer_load_dword v2, off, s[100:103], 0
	buffer_load_dword v3, off, s[100:103], 0 offset:4
	v_mov_b32_e32 v71, 0
	s_mov_b32 s14, 0x54442d18
	s_mov_b32 s15, 0x3ff921fb
	;; [unrolled: 1-line block ×4, first 2 shown]
	s_waitcnt vmcnt(0)
	v_cmp_le_f64_e64 vcc_lo, 0x7b000000, |v[2:3]|
	v_cndmask_b32_e32 v7, v88, v60, vcc_lo
	v_cndmask_b32_e32 v6, v2, v59, vcc_lo
	v_mul_f64 v[41:42], v[57:58], v[6:7]
	v_mul_f64 v[43:44], v[22:23], v[6:7]
	;; [unrolled: 1-line block ×3, first 2 shown]
	v_fma_f64 v[45:46], v[57:58], v[6:7], -v[41:42]
	v_fma_f64 v[69:70], v[22:23], v[6:7], -v[43:44]
	;; [unrolled: 1-line block ×3, first 2 shown]
	v_add_f64 v[51:52], v[43:44], v[45:46]
	v_add_f64 v[61:62], v[51:52], -v[43:44]
	v_add_f64 v[65:66], v[41:42], v[51:52]
	v_add_f64 v[63:64], v[51:52], -v[61:62]
	v_add_f64 v[45:46], v[45:46], -v[61:62]
	v_ldexp_f64 v[61:62], v[65:66], -2
	v_add_f64 v[41:42], v[65:66], -v[41:42]
	v_add_f64 v[43:44], v[43:44], -v[63:64]
	v_add_f64 v[63:64], v[67:68], v[69:70]
	v_cmp_neq_f64_e64 vcc_lo, 0x7ff00000, |v[61:62]|
	v_add_f64 v[41:42], v[51:52], -v[41:42]
	v_add_f64 v[43:44], v[45:46], v[43:44]
	v_fract_f64_e32 v[45:46], v[61:62]
	v_add_f64 v[51:52], v[63:64], v[43:44]
	v_ldexp_f64 v[45:46], v[45:46], 2
	v_add_f64 v[61:62], v[41:42], v[51:52]
	v_cndmask_b32_e32 v46, 0, v46, vcc_lo
	v_cndmask_b32_e32 v45, 0, v45, vcc_lo
	v_add_f64 v[77:78], v[51:52], -v[63:64]
	v_add_f64 v[65:66], v[61:62], v[45:46]
	v_add_f64 v[41:42], v[61:62], -v[41:42]
	v_add_f64 v[91:92], v[51:52], -v[77:78]
	;; [unrolled: 1-line block ×3, first 2 shown]
	v_cmp_gt_f64_e32 vcc_lo, 0, v[65:66]
	v_add_f64 v[65:66], v[63:64], -v[67:68]
	v_add_f64 v[41:42], v[51:52], -v[41:42]
	v_cndmask_b32_e64 v72, 0, 0x40100000, vcc_lo
	v_add_f64 v[89:90], v[63:64], -v[65:66]
	v_add_f64 v[65:66], v[69:70], -v[65:66]
	;; [unrolled: 1-line block ×3, first 2 shown]
	v_add_f64 v[45:46], v[45:46], v[71:72]
	v_add_f64 v[69:70], v[67:68], -v[89:90]
	v_add_f64 v[43:44], v[43:44], v[63:64]
	v_add_f64 v[79:80], v[61:62], v[45:46]
	;; [unrolled: 1-line block ×3, first 2 shown]
	v_cvt_i32_f64_e32 v2, v[79:80]
	v_add_f64 v[43:44], v[65:66], v[43:44]
	v_cvt_f64_i32_e32 v[77:78], v2
	v_add_f64 v[6:7], v[6:7], v[43:44]
	v_add_f64 v[45:46], v[45:46], -v[77:78]
	v_add_f64 v[6:7], v[41:42], v[6:7]
	v_add_f64 v[63:64], v[61:62], v[45:46]
	v_add_f64 v[43:44], v[63:64], -v[45:46]
	v_cmp_le_f64_e32 vcc_lo, 0.5, v[63:64]
	v_add_f64 v[41:42], v[61:62], -v[43:44]
	v_cndmask_b32_e64 v72, 0, 0x3ff00000, vcc_lo
	v_add_co_ci_u32_e64 v85, null, 0, v2, vcc_lo
	v_add_f64 v[6:7], v[6:7], v[41:42]
	v_add_f64 v[41:42], v[63:64], -v[71:72]
	v_add_f64 v[43:44], v[41:42], v[6:7]
	v_mul_f64 v[45:46], v[43:44], s[14:15]
	v_add_f64 v[41:42], v[43:44], -v[41:42]
	v_fma_f64 v[51:52], v[43:44], s[14:15], -v[45:46]
	v_add_f64 v[6:7], v[6:7], -v[41:42]
	v_fma_f64 v[41:42], v[43:44], s[16:17], v[51:52]
	v_fma_f64 v[6:7], v[6:7], s[14:15], v[41:42]
	v_add_f64 v[43:44], v[45:46], v[6:7]
	v_add_f64 v[41:42], v[43:44], -v[45:46]
	v_add_f64 v[45:46], v[6:7], -v[41:42]
	s_andn2_saveexec_b32 s2, s2
	s_cbranch_execz .LBB1_44
	s_branch .LBB1_43
.LBB1_42:
	s_andn2_saveexec_b32 s2, s2
	s_cbranch_execz .LBB1_44
.LBB1_43:
	s_clause 0x1
	buffer_load_dword v2, off, s[100:103], 0
	buffer_load_dword v3, off, s[100:103], 0 offset:4
	s_mov_b32 s14, 0x6dc9c883
	s_mov_b32 s15, 0x3fe45f30
	;; [unrolled: 1-line block ×4, first 2 shown]
	s_waitcnt vmcnt(0)
	v_mul_f64 v[6:7], |v[2:3]|, s[14:15]
	s_mov_b32 s14, 0x54442d18
	s_mov_b32 s15, 0xbff921fb
	v_rndne_f64_e32 v[6:7], v[6:7]
	v_fma_f64 v[41:42], v[6:7], s[14:15], |v[2:3]|
	v_mul_f64 v[43:44], v[6:7], s[16:17]
	s_mov_b32 s14, 0x252049c0
	s_mov_b32 s15, 0xb97b839a
	v_cvt_i32_f64_e32 v85, v[6:7]
	v_fma_f64 v[51:52], v[6:7], s[16:17], v[41:42]
	v_add_f64 v[45:46], v[41:42], v[43:44]
	s_mov_b32 s17, 0x3c91a626
	v_add_f64 v[41:42], v[41:42], -v[45:46]
	v_add_f64 v[45:46], v[45:46], -v[51:52]
	v_add_f64 v[41:42], v[41:42], v[43:44]
	v_fma_f64 v[43:44], v[6:7], s[16:17], v[43:44]
	v_add_f64 v[41:42], v[45:46], v[41:42]
	v_add_f64 v[41:42], v[41:42], -v[43:44]
	v_fma_f64 v[41:42], v[6:7], s[14:15], v[41:42]
	v_add_f64 v[43:44], v[51:52], v[41:42]
	v_add_f64 v[45:46], v[43:44], -v[51:52]
	v_add_f64 v[45:46], v[41:42], -v[45:46]
.LBB1_44:
	s_or_b32 exec_lo, exec_lo, s2
                                        ; implicit-def: $vgpr83
                                        ; implicit-def: $vgpr41_vgpr42
                                        ; implicit-def: $vgpr51_vgpr52
	s_and_saveexec_b32 s2, s10
	s_xor_b32 s2, exec_lo, s2
	s_cbranch_execz .LBB1_48
; %bb.45:
	s_clause 0x1
	buffer_load_dword v2, off, s[100:103], 0
	buffer_load_dword v3, off, s[100:103], 0 offset:4
	s_mov_b32 s14, 0x54442d18
	s_mov_b32 s15, 0x3ff921fb
	;; [unrolled: 1-line block ×4, first 2 shown]
	s_waitcnt vmcnt(0)
	v_cmp_le_f64_e64 vcc_lo, 0x7b000000, |v[2:3]|
	v_cndmask_b32_e32 v7, v88, v60, vcc_lo
	v_cndmask_b32_e32 v6, v2, v59, vcc_lo
	v_mul_f64 v[51:52], v[57:58], v[6:7]
	v_mul_f64 v[41:42], v[22:23], v[6:7]
	v_fma_f64 v[61:62], v[57:58], v[6:7], -v[51:52]
	v_add_f64 v[63:64], v[41:42], v[61:62]
	v_add_f64 v[71:72], v[63:64], -v[41:42]
	v_add_f64 v[65:66], v[51:52], v[63:64]
	v_add_f64 v[61:62], v[61:62], -v[71:72]
	v_add_f64 v[71:72], v[63:64], -v[71:72]
	v_ldexp_f64 v[67:68], v[65:66], -2
	v_add_f64 v[51:52], v[65:66], -v[51:52]
	v_add_f64 v[71:72], v[41:42], -v[71:72]
	v_fma_f64 v[41:42], v[22:23], v[6:7], -v[41:42]
	v_add_f64 v[51:52], v[63:64], -v[51:52]
	v_fract_f64_e32 v[69:70], v[67:68]
	v_cmp_neq_f64_e64 vcc_lo, 0x7ff00000, |v[67:68]|
	v_add_f64 v[61:62], v[61:62], v[71:72]
	v_mul_f64 v[71:72], v[20:21], v[6:7]
	v_add_f64 v[77:78], v[71:72], v[41:42]
	v_fma_f64 v[6:7], v[20:21], v[6:7], -v[71:72]
	v_add_f64 v[79:80], v[77:78], v[61:62]
	v_add_f64 v[65:66], v[79:80], -v[77:78]
	v_add_f64 v[63:64], v[51:52], v[79:80]
	v_add_f64 v[61:62], v[61:62], -v[65:66]
	v_add_f64 v[65:66], v[79:80], -v[65:66]
	;; [unrolled: 1-line block ×5, first 2 shown]
	v_add_f64 v[61:62], v[61:62], v[65:66]
	v_add_f64 v[65:66], v[77:78], -v[71:72]
	v_add_f64 v[41:42], v[41:42], -v[65:66]
	;; [unrolled: 1-line block ×4, first 2 shown]
	v_add_f64 v[41:42], v[41:42], v[65:66]
	v_add_f64 v[41:42], v[41:42], v[61:62]
	;; [unrolled: 1-line block ×3, first 2 shown]
	v_ldexp_f64 v[41:42], v[69:70], 2
	v_add_f64 v[6:7], v[51:52], v[6:7]
	v_cndmask_b32_e32 v42, 0, v42, vcc_lo
	v_cndmask_b32_e32 v41, 0, v41, vcc_lo
	v_add_f64 v[51:52], v[63:64], v[41:42]
	v_cmp_gt_f64_e32 vcc_lo, 0, v[51:52]
	v_mov_b32_e32 v51, 0
	v_cndmask_b32_e64 v52, 0, 0x40100000, vcc_lo
	v_add_f64 v[41:42], v[41:42], v[51:52]
	v_add_f64 v[61:62], v[63:64], v[41:42]
	v_cvt_i32_f64_e32 v2, v[61:62]
	v_cvt_f64_i32_e32 v[61:62], v2
	v_add_f64 v[41:42], v[41:42], -v[61:62]
	v_add_f64 v[61:62], v[63:64], v[41:42]
	v_add_f64 v[41:42], v[61:62], -v[41:42]
	v_cmp_le_f64_e32 vcc_lo, 0.5, v[61:62]
	v_add_f64 v[41:42], v[63:64], -v[41:42]
	v_cndmask_b32_e64 v52, 0, 0x3ff00000, vcc_lo
	v_add_co_ci_u32_e64 v83, null, 0, v2, vcc_lo
	v_add_f64 v[6:7], v[6:7], v[41:42]
	v_add_f64 v[41:42], v[61:62], -v[51:52]
	v_add_f64 v[51:52], v[41:42], v[6:7]
	v_add_f64 v[41:42], v[51:52], -v[41:42]
	v_mul_f64 v[61:62], v[51:52], s[14:15]
	v_add_f64 v[6:7], v[6:7], -v[41:42]
	v_fma_f64 v[41:42], v[51:52], s[14:15], -v[61:62]
	v_fma_f64 v[41:42], v[51:52], s[16:17], v[41:42]
	v_fma_f64 v[6:7], v[6:7], s[14:15], v[41:42]
	v_add_f64 v[41:42], v[61:62], v[6:7]
	v_add_f64 v[51:52], v[41:42], -v[61:62]
	v_add_f64 v[51:52], v[6:7], -v[51:52]
	s_andn2_saveexec_b32 s2, s2
	s_cbranch_execnz .LBB1_49
.LBB1_46:
	s_or_b32 exec_lo, exec_lo, s2
	s_and_b32 vcc_lo, exec_lo, s22
	s_cbranch_vccz .LBB1_50
.LBB1_47:
	v_cmp_le_f64_e64 vcc_lo, 0x7b000000, |s[6:7]|
	s_and_b32 s2, s7, 0x7fffffff
	s_mov_b32 s14, 0x54442d18
	s_mov_b32 s15, 0x3ff921fb
	;; [unrolled: 1-line block ×4, first 2 shown]
	v_cndmask_b32_e32 v7, s2, v15, vcc_lo
	v_cndmask_b32_e32 v6, s6, v14, vcc_lo
	s_mov_b32 s2, 0
	v_mul_f64 v[61:62], v[12:13], v[6:7]
	v_mul_f64 v[63:64], v[10:11], v[6:7]
	;; [unrolled: 1-line block ×3, first 2 shown]
	v_fma_f64 v[65:66], v[12:13], v[6:7], -v[61:62]
	v_fma_f64 v[89:90], v[10:11], v[6:7], -v[63:64]
	;; [unrolled: 1-line block ×3, first 2 shown]
	v_add_f64 v[67:68], v[63:64], v[65:66]
	v_add_f64 v[69:70], v[67:68], -v[63:64]
	v_add_f64 v[77:78], v[61:62], v[67:68]
	v_add_f64 v[71:72], v[67:68], -v[69:70]
	v_add_f64 v[65:66], v[65:66], -v[69:70]
	v_ldexp_f64 v[69:70], v[77:78], -2
	v_add_f64 v[61:62], v[77:78], -v[61:62]
	v_add_f64 v[63:64], v[63:64], -v[71:72]
	v_add_f64 v[71:72], v[79:80], v[89:90]
	v_cmp_neq_f64_e64 vcc_lo, 0x7ff00000, |v[69:70]|
	v_add_f64 v[61:62], v[67:68], -v[61:62]
	v_add_f64 v[63:64], v[65:66], v[63:64]
	v_fract_f64_e32 v[65:66], v[69:70]
	v_add_f64 v[67:68], v[71:72], v[63:64]
	v_ldexp_f64 v[65:66], v[65:66], 2
	v_add_f64 v[69:70], v[61:62], v[67:68]
	v_cndmask_b32_e32 v66, 0, v66, vcc_lo
	v_cndmask_b32_e32 v65, 0, v65, vcc_lo
	v_add_f64 v[91:92], v[67:68], -v[71:72]
	v_add_f64 v[77:78], v[69:70], v[65:66]
	v_add_f64 v[61:62], v[69:70], -v[61:62]
	v_add_f64 v[97:98], v[67:68], -v[91:92]
	;; [unrolled: 1-line block ×3, first 2 shown]
	v_cmp_gt_f64_e32 vcc_lo, 0, v[77:78]
	v_add_f64 v[77:78], v[71:72], -v[79:80]
	v_add_f64 v[61:62], v[67:68], -v[61:62]
	s_and_b32 s3, vcc_lo, exec_lo
	s_cselect_b32 s3, 0x40100000, 0
	v_add_f64 v[95:96], v[71:72], -v[77:78]
	v_add_f64 v[65:66], v[65:66], s[2:3]
	v_add_f64 v[77:78], v[89:90], -v[77:78]
	v_add_f64 v[71:72], v[71:72], -v[97:98]
	v_add_f64 v[89:90], v[79:80], -v[95:96]
	v_add_f64 v[93:94], v[69:70], v[65:66]
	v_add_f64 v[63:64], v[63:64], v[71:72]
	;; [unrolled: 1-line block ×3, first 2 shown]
	v_cvt_i32_f64_e32 v2, v[93:94]
	v_add_f64 v[63:64], v[77:78], v[63:64]
	v_cvt_f64_i32_e32 v[91:92], v2
	v_add_f64 v[6:7], v[6:7], v[63:64]
	v_add_f64 v[65:66], v[65:66], -v[91:92]
	v_add_f64 v[6:7], v[61:62], v[6:7]
	v_add_f64 v[71:72], v[69:70], v[65:66]
	v_add_f64 v[63:64], v[71:72], -v[65:66]
	v_cmp_le_f64_e32 vcc_lo, 0.5, v[71:72]
	v_add_f64 v[61:62], v[69:70], -v[63:64]
	s_and_b32 s3, vcc_lo, exec_lo
	s_cselect_b32 s3, 0x3ff00000, 0
	v_add_co_ci_u32_e64 v91, null, 0, v2, vcc_lo
	v_add_f64 v[6:7], v[6:7], v[61:62]
	v_add_f64 v[61:62], v[71:72], -s[2:3]
	v_add_f64 v[63:64], v[61:62], v[6:7]
	v_mul_f64 v[65:66], v[63:64], s[14:15]
	v_add_f64 v[61:62], v[63:64], -v[61:62]
	v_fma_f64 v[67:68], v[63:64], s[14:15], -v[65:66]
	v_add_f64 v[6:7], v[6:7], -v[61:62]
	v_fma_f64 v[61:62], v[63:64], s[16:17], v[67:68]
	v_fma_f64 v[6:7], v[6:7], s[14:15], v[61:62]
	v_add_f64 v[69:70], v[65:66], v[6:7]
	v_add_f64 v[61:62], v[69:70], -v[65:66]
	v_add_f64 v[71:72], v[6:7], -v[61:62]
	s_cbranch_execz .LBB1_51
	s_branch .LBB1_52
.LBB1_48:
	s_andn2_saveexec_b32 s2, s2
	s_cbranch_execz .LBB1_46
.LBB1_49:
	s_clause 0x1
	buffer_load_dword v2, off, s[100:103], 0
	buffer_load_dword v3, off, s[100:103], 0 offset:4
	s_mov_b32 s14, 0x6dc9c883
	s_mov_b32 s15, 0x3fe45f30
	s_mov_b32 s17, 0xbc91a626
	s_mov_b32 s16, 0x33145c00
	s_waitcnt vmcnt(0)
	v_mul_f64 v[6:7], |v[2:3]|, s[14:15]
	s_mov_b32 s14, 0x54442d18
	s_mov_b32 s15, 0xbff921fb
	v_rndne_f64_e32 v[6:7], v[6:7]
	v_fma_f64 v[41:42], v[6:7], s[14:15], |v[2:3]|
	v_mul_f64 v[51:52], v[6:7], s[16:17]
	s_mov_b32 s14, 0x252049c0
	s_mov_b32 s15, 0xb97b839a
	v_cvt_i32_f64_e32 v83, v[6:7]
	v_fma_f64 v[63:64], v[6:7], s[16:17], v[41:42]
	v_add_f64 v[61:62], v[41:42], v[51:52]
	s_mov_b32 s17, 0x3c91a626
	v_add_f64 v[41:42], v[41:42], -v[61:62]
	v_add_f64 v[61:62], v[61:62], -v[63:64]
	v_add_f64 v[41:42], v[41:42], v[51:52]
	v_fma_f64 v[51:52], v[6:7], s[16:17], v[51:52]
	v_add_f64 v[41:42], v[61:62], v[41:42]
	v_add_f64 v[41:42], v[41:42], -v[51:52]
	v_fma_f64 v[51:52], v[6:7], s[14:15], v[41:42]
	v_add_f64 v[41:42], v[63:64], v[51:52]
	v_add_f64 v[61:62], v[41:42], -v[63:64]
	v_add_f64 v[51:52], v[51:52], -v[61:62]
	s_or_b32 exec_lo, exec_lo, s2
	s_and_b32 vcc_lo, exec_lo, s22
	s_cbranch_vccnz .LBB1_47
.LBB1_50:
                                        ; implicit-def: $vgpr91
                                        ; implicit-def: $vgpr69_vgpr70
                                        ; implicit-def: $vgpr71_vgpr72
.LBB1_51:
	s_mov_b32 s2, 0x6dc9c883
	s_mov_b32 s3, 0x3fe45f30
	;; [unrolled: 1-line block ×3, first 2 shown]
	v_mul_f64 v[6:7], |s[6:7]|, s[2:3]
	s_mov_b32 s2, 0x54442d18
	s_mov_b32 s3, 0xbff921fb
	;; [unrolled: 1-line block ×3, first 2 shown]
	v_rndne_f64_e32 v[6:7], v[6:7]
	v_fma_f64 v[61:62], v[6:7], s[2:3], |s[6:7]|
	v_mul_f64 v[63:64], v[6:7], s[14:15]
	s_mov_b32 s2, 0x252049c0
	s_mov_b32 s3, 0xb97b839a
	v_cvt_i32_f64_e32 v91, v[6:7]
	v_fma_f64 v[67:68], v[6:7], s[14:15], v[61:62]
	v_add_f64 v[65:66], v[61:62], v[63:64]
	s_mov_b32 s15, 0x3c91a626
	v_add_f64 v[61:62], v[61:62], -v[65:66]
	v_add_f64 v[65:66], v[65:66], -v[67:68]
	v_add_f64 v[61:62], v[61:62], v[63:64]
	v_fma_f64 v[63:64], v[6:7], s[14:15], v[63:64]
	v_add_f64 v[61:62], v[65:66], v[61:62]
	v_add_f64 v[61:62], v[61:62], -v[63:64]
	v_fma_f64 v[61:62], v[6:7], s[2:3], v[61:62]
	v_add_f64 v[69:70], v[67:68], v[61:62]
	v_add_f64 v[63:64], v[69:70], -v[67:68]
	v_add_f64 v[71:72], v[61:62], -v[63:64]
.LBB1_52:
                                        ; implicit-def: $vgpr90
                                        ; implicit-def: $vgpr65_vgpr66
                                        ; implicit-def: $vgpr67_vgpr68
	s_and_saveexec_b32 s2, s10
	s_xor_b32 s2, exec_lo, s2
	s_cbranch_execz .LBB1_54
; %bb.53:
	s_clause 0x1
	buffer_load_dword v2, off, s[100:103], 0
	buffer_load_dword v3, off, s[100:103], 0 offset:4
	v_mov_b32_e32 v96, 0
	s_mov_b32 s14, 0x54442d18
	s_mov_b32 s15, 0x3ff921fb
	;; [unrolled: 1-line block ×4, first 2 shown]
	s_waitcnt vmcnt(0)
	v_cmp_le_f64_e64 vcc_lo, 0x7b000000, |v[2:3]|
	v_cndmask_b32_e32 v7, v88, v60, vcc_lo
	v_cndmask_b32_e32 v6, v2, v59, vcc_lo
	v_mul_f64 v[61:62], v[57:58], v[6:7]
	v_mul_f64 v[63:64], v[22:23], v[6:7]
	;; [unrolled: 1-line block ×3, first 2 shown]
	v_fma_f64 v[65:66], v[57:58], v[6:7], -v[61:62]
	v_fma_f64 v[94:95], v[22:23], v[6:7], -v[63:64]
	;; [unrolled: 1-line block ×3, first 2 shown]
	v_add_f64 v[67:68], v[63:64], v[65:66]
	v_add_f64 v[77:78], v[67:68], -v[63:64]
	v_add_f64 v[89:90], v[61:62], v[67:68]
	v_add_f64 v[79:80], v[67:68], -v[77:78]
	v_add_f64 v[65:66], v[65:66], -v[77:78]
	v_ldexp_f64 v[77:78], v[89:90], -2
	v_add_f64 v[61:62], v[89:90], -v[61:62]
	v_add_f64 v[63:64], v[63:64], -v[79:80]
	v_add_f64 v[79:80], v[92:93], v[94:95]
	v_cmp_neq_f64_e64 vcc_lo, 0x7ff00000, |v[77:78]|
	v_add_f64 v[61:62], v[67:68], -v[61:62]
	v_add_f64 v[63:64], v[65:66], v[63:64]
	v_fract_f64_e32 v[65:66], v[77:78]
	v_add_f64 v[67:68], v[79:80], v[63:64]
	v_ldexp_f64 v[65:66], v[65:66], 2
	v_add_f64 v[77:78], v[61:62], v[67:68]
	v_cndmask_b32_e32 v66, 0, v66, vcc_lo
	v_cndmask_b32_e32 v65, 0, v65, vcc_lo
	v_add_f64 v[89:90], v[77:78], v[65:66]
	v_add_f64 v[61:62], v[77:78], -v[61:62]
	v_cmp_gt_f64_e32 vcc_lo, 0, v[89:90]
	v_add_f64 v[89:90], v[79:80], -v[92:93]
	v_add_f64 v[61:62], v[67:68], -v[61:62]
	v_cndmask_b32_e64 v97, 0, 0x40100000, vcc_lo
	v_add_f64 v[101:102], v[79:80], -v[89:90]
	v_add_f64 v[89:90], v[94:95], -v[89:90]
	v_add_f64 v[65:66], v[65:66], v[96:97]
	v_add_f64 v[97:98], v[67:68], -v[79:80]
	v_add_f64 v[94:95], v[92:93], -v[101:102]
	v_add_f64 v[99:100], v[77:78], v[65:66]
	;; [unrolled: 3-line block ×3, first 2 shown]
	v_cvt_i32_f64_e32 v2, v[99:100]
	v_add_f64 v[79:80], v[79:80], -v[103:104]
	v_cvt_f64_i32_e32 v[97:98], v2
	v_add_f64 v[63:64], v[63:64], v[79:80]
	v_add_f64 v[65:66], v[65:66], -v[97:98]
	v_add_f64 v[63:64], v[89:90], v[63:64]
	v_add_f64 v[79:80], v[77:78], v[65:66]
	;; [unrolled: 1-line block ×3, first 2 shown]
	v_add_f64 v[63:64], v[79:80], -v[65:66]
	v_cmp_le_f64_e32 vcc_lo, 0.5, v[79:80]
	v_add_f64 v[6:7], v[61:62], v[6:7]
	v_add_f64 v[61:62], v[77:78], -v[63:64]
	v_cndmask_b32_e64 v97, 0, 0x3ff00000, vcc_lo
	v_add_co_ci_u32_e64 v90, null, 0, v2, vcc_lo
	v_add_f64 v[6:7], v[6:7], v[61:62]
	v_add_f64 v[61:62], v[79:80], -v[96:97]
	v_add_f64 v[63:64], v[61:62], v[6:7]
	v_mul_f64 v[67:68], v[63:64], s[14:15]
	v_add_f64 v[61:62], v[63:64], -v[61:62]
	v_fma_f64 v[65:66], v[63:64], s[14:15], -v[67:68]
	v_add_f64 v[6:7], v[6:7], -v[61:62]
	v_fma_f64 v[61:62], v[63:64], s[16:17], v[65:66]
	v_fma_f64 v[6:7], v[6:7], s[14:15], v[61:62]
	v_add_f64 v[65:66], v[67:68], v[6:7]
	v_add_f64 v[61:62], v[65:66], -v[67:68]
	v_add_f64 v[67:68], v[6:7], -v[61:62]
	s_andn2_saveexec_b32 s2, s2
	s_cbranch_execz .LBB1_56
	s_branch .LBB1_55
.LBB1_54:
	s_andn2_saveexec_b32 s2, s2
	s_cbranch_execz .LBB1_56
.LBB1_55:
	s_clause 0x1
	buffer_load_dword v2, off, s[100:103], 0
	buffer_load_dword v3, off, s[100:103], 0 offset:4
	s_mov_b32 s14, 0x6dc9c883
	s_mov_b32 s15, 0x3fe45f30
	;; [unrolled: 1-line block ×4, first 2 shown]
	s_waitcnt vmcnt(0)
	v_mul_f64 v[6:7], |v[2:3]|, s[14:15]
	s_mov_b32 s14, 0x54442d18
	s_mov_b32 s15, 0xbff921fb
	v_rndne_f64_e32 v[6:7], v[6:7]
	v_fma_f64 v[61:62], v[6:7], s[14:15], |v[2:3]|
	v_mul_f64 v[63:64], v[6:7], s[16:17]
	s_mov_b32 s14, 0x252049c0
	s_mov_b32 s15, 0xb97b839a
	v_cvt_i32_f64_e32 v90, v[6:7]
	v_fma_f64 v[67:68], v[6:7], s[16:17], v[61:62]
	v_add_f64 v[65:66], v[61:62], v[63:64]
	s_mov_b32 s17, 0x3c91a626
	v_add_f64 v[61:62], v[61:62], -v[65:66]
	v_add_f64 v[65:66], v[65:66], -v[67:68]
	v_add_f64 v[61:62], v[61:62], v[63:64]
	v_fma_f64 v[63:64], v[6:7], s[16:17], v[63:64]
	v_add_f64 v[61:62], v[65:66], v[61:62]
	v_add_f64 v[61:62], v[61:62], -v[63:64]
	v_fma_f64 v[61:62], v[6:7], s[14:15], v[61:62]
	v_add_f64 v[65:66], v[67:68], v[61:62]
	v_add_f64 v[63:64], v[65:66], -v[67:68]
	v_add_f64 v[67:68], v[61:62], -v[63:64]
.LBB1_56:
	s_or_b32 exec_lo, exec_lo, s2
                                        ; implicit-def: $vgpr89
                                        ; implicit-def: $vgpr61_vgpr62
                                        ; implicit-def: $vgpr63_vgpr64
	s_and_saveexec_b32 s2, s10
	s_xor_b32 s2, exec_lo, s2
	s_cbranch_execz .LBB1_60
; %bb.57:
	s_clause 0x1
	buffer_load_dword v2, off, s[100:103], 0
	buffer_load_dword v3, off, s[100:103], 0 offset:4
	s_mov_b32 s14, 0x54442d18
	s_mov_b32 s15, 0x3ff921fb
	;; [unrolled: 1-line block ×4, first 2 shown]
	s_waitcnt vmcnt(0)
	v_cmp_le_f64_e64 vcc_lo, 0x7b000000, |v[2:3]|
	v_cndmask_b32_e32 v7, v88, v60, vcc_lo
	v_cndmask_b32_e32 v6, v2, v59, vcc_lo
	v_mul_f64 v[63:64], v[57:58], v[6:7]
	v_mul_f64 v[61:62], v[22:23], v[6:7]
	v_fma_f64 v[77:78], v[57:58], v[6:7], -v[63:64]
	v_add_f64 v[79:80], v[61:62], v[77:78]
	v_add_f64 v[98:99], v[79:80], -v[61:62]
	v_add_f64 v[92:93], v[63:64], v[79:80]
	v_add_f64 v[77:78], v[77:78], -v[98:99]
	v_add_f64 v[98:99], v[79:80], -v[98:99]
	v_ldexp_f64 v[94:95], v[92:93], -2
	v_add_f64 v[63:64], v[92:93], -v[63:64]
	v_add_f64 v[98:99], v[61:62], -v[98:99]
	v_fma_f64 v[61:62], v[22:23], v[6:7], -v[61:62]
	v_add_f64 v[63:64], v[79:80], -v[63:64]
	v_fract_f64_e32 v[96:97], v[94:95]
	v_cmp_neq_f64_e64 vcc_lo, 0x7ff00000, |v[94:95]|
	v_add_f64 v[77:78], v[77:78], v[98:99]
	v_mul_f64 v[98:99], v[20:21], v[6:7]
	v_add_f64 v[100:101], v[98:99], v[61:62]
	v_fma_f64 v[6:7], v[20:21], v[6:7], -v[98:99]
	v_add_f64 v[102:103], v[100:101], v[77:78]
	v_add_f64 v[92:93], v[102:103], -v[100:101]
	v_add_f64 v[79:80], v[63:64], v[102:103]
	v_add_f64 v[77:78], v[77:78], -v[92:93]
	v_add_f64 v[92:93], v[102:103], -v[92:93]
	;; [unrolled: 1-line block ×5, first 2 shown]
	v_add_f64 v[77:78], v[77:78], v[92:93]
	v_add_f64 v[92:93], v[100:101], -v[98:99]
	v_add_f64 v[61:62], v[61:62], -v[92:93]
	v_add_f64 v[92:93], v[100:101], -v[92:93]
	v_add_f64 v[92:93], v[98:99], -v[92:93]
	v_add_f64 v[61:62], v[61:62], v[92:93]
	v_add_f64 v[61:62], v[61:62], v[77:78]
	;; [unrolled: 1-line block ×3, first 2 shown]
	v_ldexp_f64 v[61:62], v[96:97], 2
	v_add_f64 v[6:7], v[63:64], v[6:7]
	v_cndmask_b32_e32 v62, 0, v62, vcc_lo
	v_cndmask_b32_e32 v61, 0, v61, vcc_lo
	v_add_f64 v[63:64], v[79:80], v[61:62]
	v_cmp_gt_f64_e32 vcc_lo, 0, v[63:64]
	v_mov_b32_e32 v63, 0
	v_cndmask_b32_e64 v64, 0, 0x40100000, vcc_lo
	v_add_f64 v[61:62], v[61:62], v[63:64]
	v_add_f64 v[77:78], v[79:80], v[61:62]
	v_cvt_i32_f64_e32 v2, v[77:78]
	v_cvt_f64_i32_e32 v[77:78], v2
	v_add_f64 v[61:62], v[61:62], -v[77:78]
	v_add_f64 v[77:78], v[79:80], v[61:62]
	v_add_f64 v[61:62], v[77:78], -v[61:62]
	v_cmp_le_f64_e32 vcc_lo, 0.5, v[77:78]
	v_add_f64 v[61:62], v[79:80], -v[61:62]
	v_cndmask_b32_e64 v64, 0, 0x3ff00000, vcc_lo
	v_add_co_ci_u32_e64 v89, null, 0, v2, vcc_lo
	v_add_f64 v[6:7], v[6:7], v[61:62]
	v_add_f64 v[61:62], v[77:78], -v[63:64]
	v_add_f64 v[63:64], v[61:62], v[6:7]
	v_add_f64 v[61:62], v[63:64], -v[61:62]
	v_mul_f64 v[77:78], v[63:64], s[14:15]
	v_add_f64 v[6:7], v[6:7], -v[61:62]
	v_fma_f64 v[61:62], v[63:64], s[14:15], -v[77:78]
	v_fma_f64 v[61:62], v[63:64], s[16:17], v[61:62]
	v_fma_f64 v[6:7], v[6:7], s[14:15], v[61:62]
	v_add_f64 v[61:62], v[77:78], v[6:7]
	v_add_f64 v[63:64], v[61:62], -v[77:78]
	v_add_f64 v[63:64], v[6:7], -v[63:64]
	s_andn2_saveexec_b32 s2, s2
	s_cbranch_execnz .LBB1_61
.LBB1_58:
	s_or_b32 exec_lo, exec_lo, s2
	s_and_b32 vcc_lo, exec_lo, s22
	s_cbranch_vccz .LBB1_62
.LBB1_59:
	v_cmp_le_f64_e64 vcc_lo, 0x7b000000, |s[6:7]|
	s_and_b32 s3, s7, 0x7fffffff
	s_mov_b32 s2, 0
	s_mov_b32 s14, 0x54442d18
	;; [unrolled: 1-line block ×5, first 2 shown]
	v_cndmask_b32_e32 v7, s3, v15, vcc_lo
	v_cndmask_b32_e32 v6, s6, v14, vcc_lo
	v_mul_f64 v[77:78], v[12:13], v[6:7]
	v_mul_f64 v[14:15], v[10:11], v[6:7]
	v_fma_f64 v[12:13], v[12:13], v[6:7], -v[77:78]
	v_fma_f64 v[10:11], v[10:11], v[6:7], -v[14:15]
	v_add_f64 v[79:80], v[14:15], v[12:13]
	v_add_f64 v[98:99], v[79:80], -v[14:15]
	v_add_f64 v[92:93], v[77:78], v[79:80]
	v_add_f64 v[12:13], v[12:13], -v[98:99]
	v_add_f64 v[98:99], v[79:80], -v[98:99]
	v_ldexp_f64 v[94:95], v[92:93], -2
	v_add_f64 v[77:78], v[92:93], -v[77:78]
	v_add_f64 v[98:99], v[14:15], -v[98:99]
	v_mul_f64 v[14:15], v[8:9], v[6:7]
	v_fract_f64_e32 v[96:97], v[94:95]
	v_add_f64 v[77:78], v[79:80], -v[77:78]
	v_cmp_neq_f64_e64 vcc_lo, 0x7ff00000, |v[94:95]|
	v_add_f64 v[12:13], v[12:13], v[98:99]
	v_add_f64 v[98:99], v[14:15], v[10:11]
	v_fma_f64 v[6:7], v[8:9], v[6:7], -v[14:15]
	v_ldexp_f64 v[8:9], v[96:97], 2
	v_add_f64 v[100:101], v[98:99], v[12:13]
	v_cndmask_b32_e32 v9, 0, v9, vcc_lo
	v_cndmask_b32_e32 v8, 0, v8, vcc_lo
	v_add_f64 v[92:93], v[100:101], -v[98:99]
	v_add_f64 v[79:80], v[77:78], v[100:101]
	v_add_f64 v[12:13], v[12:13], -v[92:93]
	v_add_f64 v[92:93], v[100:101], -v[92:93]
	;; [unrolled: 1-line block ×5, first 2 shown]
	v_add_f64 v[12:13], v[12:13], v[92:93]
	v_add_f64 v[92:93], v[98:99], -v[14:15]
	v_add_f64 v[10:11], v[10:11], -v[92:93]
	;; [unrolled: 1-line block ×4, first 2 shown]
	v_add_f64 v[10:11], v[10:11], v[92:93]
	v_add_f64 v[10:11], v[10:11], v[12:13]
	;; [unrolled: 1-line block ×5, first 2 shown]
	v_cmp_gt_f64_e32 vcc_lo, 0, v[10:11]
	s_and_b32 s3, vcc_lo, exec_lo
	s_cselect_b32 s3, 0x40100000, 0
	v_add_f64 v[8:9], v[8:9], s[2:3]
	v_add_f64 v[10:11], v[79:80], v[8:9]
	v_cvt_i32_f64_e32 v2, v[10:11]
	v_cvt_f64_i32_e32 v[10:11], v2
	v_add_f64 v[8:9], v[8:9], -v[10:11]
	v_add_f64 v[10:11], v[79:80], v[8:9]
	v_add_f64 v[8:9], v[10:11], -v[8:9]
	v_cmp_le_f64_e32 vcc_lo, 0.5, v[10:11]
	v_add_f64 v[8:9], v[79:80], -v[8:9]
	s_and_b32 s3, vcc_lo, exec_lo
	s_cselect_b32 s3, 0x3ff00000, 0
	v_add_co_ci_u32_e64 v93, null, 0, v2, vcc_lo
	v_add_f64 v[6:7], v[6:7], v[8:9]
	v_add_f64 v[8:9], v[10:11], -s[2:3]
	v_add_f64 v[10:11], v[8:9], v[6:7]
	v_add_f64 v[8:9], v[10:11], -v[8:9]
	v_add_f64 v[6:7], v[6:7], -v[8:9]
	v_mul_f64 v[8:9], v[10:11], s[14:15]
	v_fma_f64 v[12:13], v[10:11], s[14:15], -v[8:9]
	v_fma_f64 v[10:11], v[10:11], s[16:17], v[12:13]
	v_fma_f64 v[6:7], v[6:7], s[14:15], v[10:11]
	v_add_f64 v[77:78], v[8:9], v[6:7]
	v_add_f64 v[8:9], v[77:78], -v[8:9]
	v_add_f64 v[79:80], v[6:7], -v[8:9]
	s_cbranch_execz .LBB1_63
	s_branch .LBB1_64
.LBB1_60:
	s_andn2_saveexec_b32 s2, s2
	s_cbranch_execz .LBB1_58
.LBB1_61:
	s_clause 0x1
	buffer_load_dword v2, off, s[100:103], 0
	buffer_load_dword v3, off, s[100:103], 0 offset:4
	s_mov_b32 s14, 0x6dc9c883
	s_mov_b32 s15, 0x3fe45f30
	;; [unrolled: 1-line block ×4, first 2 shown]
	s_waitcnt vmcnt(0)
	v_mul_f64 v[6:7], |v[2:3]|, s[14:15]
	s_mov_b32 s14, 0x54442d18
	s_mov_b32 s15, 0xbff921fb
	v_rndne_f64_e32 v[6:7], v[6:7]
	v_fma_f64 v[61:62], v[6:7], s[14:15], |v[2:3]|
	v_mul_f64 v[63:64], v[6:7], s[16:17]
	s_mov_b32 s14, 0x252049c0
	s_mov_b32 s15, 0xb97b839a
	v_cvt_i32_f64_e32 v89, v[6:7]
	v_fma_f64 v[79:80], v[6:7], s[16:17], v[61:62]
	v_add_f64 v[77:78], v[61:62], v[63:64]
	s_mov_b32 s17, 0x3c91a626
	v_add_f64 v[61:62], v[61:62], -v[77:78]
	v_add_f64 v[77:78], v[77:78], -v[79:80]
	v_add_f64 v[61:62], v[61:62], v[63:64]
	v_fma_f64 v[63:64], v[6:7], s[16:17], v[63:64]
	v_add_f64 v[61:62], v[77:78], v[61:62]
	v_add_f64 v[61:62], v[61:62], -v[63:64]
	v_fma_f64 v[63:64], v[6:7], s[14:15], v[61:62]
	v_add_f64 v[61:62], v[79:80], v[63:64]
	v_add_f64 v[77:78], v[61:62], -v[79:80]
	v_add_f64 v[63:64], v[63:64], -v[77:78]
	s_or_b32 exec_lo, exec_lo, s2
	s_and_b32 vcc_lo, exec_lo, s22
	s_cbranch_vccnz .LBB1_59
.LBB1_62:
                                        ; implicit-def: $vgpr93
                                        ; implicit-def: $vgpr77_vgpr78
                                        ; implicit-def: $vgpr79_vgpr80
.LBB1_63:
	s_mov_b32 s2, 0x6dc9c883
	s_mov_b32 s3, 0x3fe45f30
	;; [unrolled: 1-line block ×3, first 2 shown]
	v_mul_f64 v[6:7], |s[6:7]|, s[2:3]
	s_mov_b32 s2, 0x54442d18
	s_mov_b32 s3, 0xbff921fb
	s_mov_b32 s14, 0x33145c00
	v_rndne_f64_e32 v[6:7], v[6:7]
	v_fma_f64 v[8:9], v[6:7], s[2:3], |s[6:7]|
	v_mul_f64 v[10:11], v[6:7], s[14:15]
	s_mov_b32 s2, 0x252049c0
	s_mov_b32 s3, 0xb97b839a
	v_cvt_i32_f64_e32 v93, v[6:7]
	v_fma_f64 v[14:15], v[6:7], s[14:15], v[8:9]
	v_add_f64 v[12:13], v[8:9], v[10:11]
	s_mov_b32 s15, 0x3c91a626
	v_add_f64 v[8:9], v[8:9], -v[12:13]
	v_add_f64 v[12:13], v[12:13], -v[14:15]
	v_add_f64 v[8:9], v[8:9], v[10:11]
	v_fma_f64 v[10:11], v[6:7], s[14:15], v[10:11]
	v_add_f64 v[8:9], v[12:13], v[8:9]
	v_add_f64 v[8:9], v[8:9], -v[10:11]
	v_fma_f64 v[8:9], v[6:7], s[2:3], v[8:9]
	v_add_f64 v[77:78], v[14:15], v[8:9]
	v_add_f64 v[10:11], v[77:78], -v[14:15]
	v_add_f64 v[79:80], v[8:9], -v[10:11]
.LBB1_64:
                                        ; implicit-def: $vgpr92
                                        ; implicit-def: $vgpr6_vgpr7
                                        ; implicit-def: $vgpr10_vgpr11
	s_and_saveexec_b32 s2, s0
	s_xor_b32 s0, exec_lo, s2
	s_cbranch_execz .LBB1_66
; %bb.65:
	v_mov_b32_e32 v2, v4
	v_mov_b32_e32 v3, v5
	;; [unrolled: 1-line block ×3, first 2 shown]
	s_mov_b32 s2, 0x54442d18
	s_mov_b32 s3, 0x3ff921fb
	;; [unrolled: 1-line block ×3, first 2 shown]
	v_cmp_le_f64_e64 vcc_lo, 0x7b000000, |v[2:3]|
	s_mov_b32 s15, 0x3c91a626
	v_cndmask_b32_e32 v7, v26, v76, vcc_lo
	v_cndmask_b32_e32 v6, v2, v75, vcc_lo
	v_mul_f64 v[8:9], v[73:74], v[6:7]
	v_mul_f64 v[10:11], v[16:17], v[6:7]
	;; [unrolled: 1-line block ×3, first 2 shown]
	v_fma_f64 v[12:13], v[73:74], v[6:7], -v[8:9]
	v_fma_f64 v[16:17], v[16:17], v[6:7], -v[10:11]
	;; [unrolled: 1-line block ×3, first 2 shown]
	v_add_f64 v[14:15], v[10:11], v[12:13]
	v_add_f64 v[73:74], v[14:15], -v[10:11]
	v_add_f64 v[94:95], v[8:9], v[14:15]
	v_add_f64 v[75:76], v[14:15], -v[73:74]
	v_add_f64 v[12:13], v[12:13], -v[73:74]
	v_ldexp_f64 v[73:74], v[94:95], -2
	v_add_f64 v[8:9], v[94:95], -v[8:9]
	v_add_f64 v[10:11], v[10:11], -v[75:76]
	v_add_f64 v[75:76], v[96:97], v[16:17]
	v_cmp_neq_f64_e64 vcc_lo, 0x7ff00000, |v[73:74]|
	v_add_f64 v[8:9], v[14:15], -v[8:9]
	v_add_f64 v[10:11], v[12:13], v[10:11]
	v_fract_f64_e32 v[12:13], v[73:74]
	v_add_f64 v[14:15], v[75:76], v[10:11]
	v_ldexp_f64 v[12:13], v[12:13], 2
	v_add_f64 v[73:74], v[8:9], v[14:15]
	v_cndmask_b32_e32 v13, 0, v13, vcc_lo
	v_cndmask_b32_e32 v12, 0, v12, vcc_lo
	v_add_f64 v[94:95], v[73:74], v[12:13]
	v_add_f64 v[6:7], v[73:74], -v[8:9]
	v_cmp_gt_f64_e32 vcc_lo, 0, v[94:95]
	v_add_f64 v[94:95], v[75:76], -v[96:97]
	v_add_f64 v[6:7], v[14:15], -v[6:7]
	v_cndmask_b32_e64 v99, 0, 0x40100000, vcc_lo
	v_add_f64 v[103:104], v[75:76], -v[94:95]
	v_add_f64 v[16:17], v[16:17], -v[94:95]
	v_add_f64 v[12:13], v[12:13], v[98:99]
	v_add_f64 v[99:100], v[14:15], -v[75:76]
	v_add_f64 v[94:95], v[96:97], -v[103:104]
	v_add_f64 v[101:102], v[73:74], v[12:13]
	;; [unrolled: 3-line block ×3, first 2 shown]
	v_cvt_i32_f64_e32 v2, v[101:102]
	v_add_f64 v[75:76], v[75:76], -v[105:106]
	v_cvt_f64_i32_e32 v[99:100], v2
	v_add_f64 v[10:11], v[10:11], v[75:76]
	v_add_f64 v[12:13], v[12:13], -v[99:100]
	v_add_f64 v[8:9], v[16:17], v[10:11]
	v_add_f64 v[10:11], v[73:74], v[12:13]
	;; [unrolled: 1-line block ×3, first 2 shown]
	v_add_f64 v[8:9], v[10:11], -v[12:13]
	v_cmp_le_f64_e32 vcc_lo, 0.5, v[10:11]
	v_add_f64 v[0:1], v[6:7], v[0:1]
	v_add_f64 v[6:7], v[73:74], -v[8:9]
	v_cndmask_b32_e64 v99, 0, 0x3ff00000, vcc_lo
	v_add_co_ci_u32_e64 v92, null, 0, v2, vcc_lo
	v_add_f64 v[0:1], v[0:1], v[6:7]
	v_add_f64 v[6:7], v[10:11], -v[98:99]
	v_add_f64 v[8:9], v[6:7], v[0:1]
	v_mul_f64 v[10:11], v[8:9], s[2:3]
	v_add_f64 v[6:7], v[8:9], -v[6:7]
	v_fma_f64 v[12:13], v[8:9], s[2:3], -v[10:11]
	v_add_f64 v[0:1], v[0:1], -v[6:7]
	v_fma_f64 v[6:7], v[8:9], s[14:15], v[12:13]
	v_fma_f64 v[0:1], v[0:1], s[2:3], v[6:7]
	v_add_f64 v[6:7], v[10:11], v[0:1]
	v_add_f64 v[8:9], v[6:7], -v[10:11]
	v_add_f64 v[10:11], v[0:1], -v[8:9]
	s_andn2_saveexec_b32 s0, s0
	s_cbranch_execz .LBB1_68
	s_branch .LBB1_67
.LBB1_66:
	s_andn2_saveexec_b32 s0, s0
	s_cbranch_execz .LBB1_68
.LBB1_67:
	v_mov_b32_e32 v2, v4
	v_mov_b32_e32 v3, v5
	s_mov_b32 s2, 0x6dc9c883
	s_mov_b32 s3, 0x3fe45f30
	;; [unrolled: 1-line block ×4, first 2 shown]
	v_mul_f64 v[0:1], |v[2:3]|, s[2:3]
	s_mov_b32 s2, 0x54442d18
	s_mov_b32 s3, 0xbff921fb
	v_rndne_f64_e32 v[0:1], v[0:1]
	v_fma_f64 v[6:7], v[0:1], s[2:3], |v[2:3]|
	v_mul_f64 v[8:9], v[0:1], s[14:15]
	s_mov_b32 s2, 0x252049c0
	s_mov_b32 s3, 0xb97b839a
	v_cvt_i32_f64_e32 v92, v[0:1]
	v_fma_f64 v[12:13], v[0:1], s[14:15], v[6:7]
	v_add_f64 v[10:11], v[6:7], v[8:9]
	s_mov_b32 s15, 0x3c91a626
	v_add_f64 v[6:7], v[6:7], -v[10:11]
	v_add_f64 v[10:11], v[10:11], -v[12:13]
	v_add_f64 v[6:7], v[6:7], v[8:9]
	v_fma_f64 v[8:9], v[0:1], s[14:15], v[8:9]
	v_add_f64 v[6:7], v[10:11], v[6:7]
	v_add_f64 v[6:7], v[6:7], -v[8:9]
	v_fma_f64 v[8:9], v[0:1], s[2:3], v[6:7]
	v_add_f64 v[6:7], v[12:13], v[8:9]
	v_add_f64 v[10:11], v[6:7], -v[12:13]
	v_add_f64 v[10:11], v[8:9], -v[10:11]
.LBB1_68:
	s_or_b32 exec_lo, exec_lo, s0
                                        ; implicit-def: $vgpr75
                                        ; implicit-def: $vgpr12_vgpr13
                                        ; implicit-def: $vgpr73_vgpr74
	s_and_saveexec_b32 s0, s10
	s_xor_b32 s0, exec_lo, s0
	s_cbranch_execz .LBB1_70
; %bb.69:
	s_clause 0x1
	buffer_load_dword v0, off, s[100:103], 0
	buffer_load_dword v1, off, s[100:103], 0 offset:4
	s_mov_b32 s2, 0x54442d18
	s_mov_b32 s3, 0x3ff921fb
	;; [unrolled: 1-line block ×4, first 2 shown]
	s_waitcnt vmcnt(0)
	v_cmp_le_f64_e64 vcc_lo, 0x7b000000, |v[0:1]|
	v_cndmask_b32_e32 v1, v88, v60, vcc_lo
	v_cndmask_b32_e32 v0, v0, v59, vcc_lo
	v_mul_f64 v[12:13], v[57:58], v[0:1]
	v_mul_f64 v[8:9], v[22:23], v[0:1]
	v_fma_f64 v[14:15], v[57:58], v[0:1], -v[12:13]
	v_add_f64 v[16:17], v[8:9], v[14:15]
	v_add_f64 v[96:97], v[16:17], -v[8:9]
	v_add_f64 v[73:74], v[12:13], v[16:17]
	v_add_f64 v[14:15], v[14:15], -v[96:97]
	v_add_f64 v[96:97], v[16:17], -v[96:97]
	v_ldexp_f64 v[75:76], v[73:74], -2
	v_add_f64 v[12:13], v[73:74], -v[12:13]
	v_add_f64 v[96:97], v[8:9], -v[96:97]
	v_fma_f64 v[8:9], v[22:23], v[0:1], -v[8:9]
	v_add_f64 v[12:13], v[16:17], -v[12:13]
	v_fract_f64_e32 v[94:95], v[75:76]
	v_cmp_neq_f64_e64 vcc_lo, 0x7ff00000, |v[75:76]|
	v_add_f64 v[14:15], v[14:15], v[96:97]
	v_mul_f64 v[96:97], v[20:21], v[0:1]
	v_add_f64 v[98:99], v[96:97], v[8:9]
	v_fma_f64 v[0:1], v[20:21], v[0:1], -v[96:97]
	v_add_f64 v[100:101], v[98:99], v[14:15]
	v_add_f64 v[73:74], v[100:101], -v[98:99]
	v_add_f64 v[16:17], v[12:13], v[100:101]
	v_add_f64 v[14:15], v[14:15], -v[73:74]
	v_add_f64 v[73:74], v[100:101], -v[73:74]
	;; [unrolled: 1-line block ×5, first 2 shown]
	v_add_f64 v[14:15], v[14:15], v[73:74]
	v_add_f64 v[73:74], v[98:99], -v[96:97]
	v_add_f64 v[8:9], v[8:9], -v[73:74]
	;; [unrolled: 1-line block ×4, first 2 shown]
	v_add_f64 v[8:9], v[8:9], v[73:74]
	v_add_f64 v[8:9], v[8:9], v[14:15]
	;; [unrolled: 1-line block ×3, first 2 shown]
	v_ldexp_f64 v[8:9], v[94:95], 2
	v_add_f64 v[0:1], v[12:13], v[0:1]
	v_cndmask_b32_e32 v9, 0, v9, vcc_lo
	v_cndmask_b32_e32 v8, 0, v8, vcc_lo
	v_add_f64 v[12:13], v[16:17], v[8:9]
	v_cmp_gt_f64_e32 vcc_lo, 0, v[12:13]
	v_mov_b32_e32 v12, 0
	v_cndmask_b32_e64 v13, 0, 0x40100000, vcc_lo
	v_add_f64 v[8:9], v[8:9], v[12:13]
	v_add_f64 v[13:14], v[16:17], v[8:9]
	v_cvt_i32_f64_e32 v2, v[13:14]
	v_cvt_f64_i32_e32 v[13:14], v2
	v_add_f64 v[8:9], v[8:9], -v[13:14]
	v_add_f64 v[14:15], v[16:17], v[8:9]
	v_add_f64 v[8:9], v[14:15], -v[8:9]
	v_cmp_le_f64_e32 vcc_lo, 0.5, v[14:15]
	v_add_f64 v[8:9], v[16:17], -v[8:9]
	v_cndmask_b32_e64 v13, 0, 0x3ff00000, vcc_lo
	v_add_co_ci_u32_e64 v75, null, 0, v2, vcc_lo
	v_add_f64 v[0:1], v[0:1], v[8:9]
	v_add_f64 v[8:9], v[14:15], -v[12:13]
	v_add_f64 v[12:13], v[8:9], v[0:1]
	v_add_f64 v[8:9], v[12:13], -v[8:9]
	v_add_f64 v[0:1], v[0:1], -v[8:9]
	v_mul_f64 v[8:9], v[12:13], s[2:3]
	v_fma_f64 v[14:15], v[12:13], s[2:3], -v[8:9]
	v_fma_f64 v[12:13], v[12:13], s[14:15], v[14:15]
	v_fma_f64 v[0:1], v[0:1], s[2:3], v[12:13]
	v_add_f64 v[12:13], v[8:9], v[0:1]
	v_add_f64 v[8:9], v[12:13], -v[8:9]
	v_add_f64 v[73:74], v[0:1], -v[8:9]
	s_andn2_saveexec_b32 s0, s0
	s_cbranch_execnz .LBB1_71
	s_branch .LBB1_72
.LBB1_70:
	s_andn2_saveexec_b32 s0, s0
	s_cbranch_execz .LBB1_72
.LBB1_71:
	s_clause 0x1
	buffer_load_dword v2, off, s[100:103], 0
	buffer_load_dword v3, off, s[100:103], 0 offset:4
	s_mov_b32 s2, 0x6dc9c883
	s_mov_b32 s3, 0x3fe45f30
	;; [unrolled: 1-line block ×4, first 2 shown]
	s_waitcnt vmcnt(0)
	v_mul_f64 v[0:1], |v[2:3]|, s[2:3]
	s_mov_b32 s2, 0x54442d18
	s_mov_b32 s3, 0xbff921fb
	v_rndne_f64_e32 v[0:1], v[0:1]
	v_fma_f64 v[8:9], v[0:1], s[2:3], |v[2:3]|
	v_mul_f64 v[12:13], v[0:1], s[14:15]
	s_mov_b32 s2, 0x252049c0
	s_mov_b32 s3, 0xb97b839a
	v_cvt_i32_f64_e32 v75, v[0:1]
	v_fma_f64 v[16:17], v[0:1], s[14:15], v[8:9]
	v_add_f64 v[14:15], v[8:9], v[12:13]
	s_mov_b32 s15, 0x3c91a626
	v_add_f64 v[8:9], v[8:9], -v[14:15]
	v_add_f64 v[14:15], v[14:15], -v[16:17]
	v_add_f64 v[8:9], v[8:9], v[12:13]
	v_fma_f64 v[12:13], v[0:1], s[14:15], v[12:13]
	v_add_f64 v[8:9], v[14:15], v[8:9]
	v_add_f64 v[8:9], v[8:9], -v[12:13]
	v_fma_f64 v[8:9], v[0:1], s[2:3], v[8:9]
	v_add_f64 v[12:13], v[16:17], v[8:9]
	v_add_f64 v[14:15], v[12:13], -v[16:17]
	v_add_f64 v[73:74], v[8:9], -v[14:15]
.LBB1_72:
	s_or_b32 exec_lo, exec_lo, s0
	s_load_dwordx2 s[16:17], s[4:5], 0x0
                                        ; implicit-def: $vgpr26
                                        ; implicit-def: $vgpr14_vgpr15
                                        ; implicit-def: $vgpr16_vgpr17
	s_and_saveexec_b32 s0, s10
	s_xor_b32 s0, exec_lo, s0
	s_cbranch_execz .LBB1_74
; %bb.73:
	s_clause 0x1
	buffer_load_dword v0, off, s[100:103], 0
	buffer_load_dword v1, off, s[100:103], 0 offset:4
	v_mov_b32_e32 v100, 0
	s_mov_b32 s2, 0x54442d18
	s_mov_b32 s3, 0x3ff921fb
	;; [unrolled: 1-line block ×4, first 2 shown]
	s_waitcnt vmcnt(0)
	v_cmp_le_f64_e64 vcc_lo, 0x7b000000, |v[0:1]|
	v_cndmask_b32_e32 v1, v88, v60, vcc_lo
	v_cndmask_b32_e32 v0, v0, v59, vcc_lo
	v_mul_f64 v[8:9], v[57:58], v[0:1]
	v_mul_f64 v[14:15], v[22:23], v[0:1]
	;; [unrolled: 1-line block ×3, first 2 shown]
	v_fma_f64 v[16:17], v[57:58], v[0:1], -v[8:9]
	v_fma_f64 v[22:23], v[22:23], v[0:1], -v[14:15]
	;; [unrolled: 1-line block ×3, first 2 shown]
	v_add_f64 v[57:58], v[14:15], v[16:17]
	v_add_f64 v[59:60], v[57:58], -v[14:15]
	v_add_f64 v[96:97], v[8:9], v[57:58]
	v_add_f64 v[94:95], v[57:58], -v[59:60]
	v_add_f64 v[16:17], v[16:17], -v[59:60]
	v_ldexp_f64 v[59:60], v[96:97], -2
	v_add_f64 v[8:9], v[96:97], -v[8:9]
	v_add_f64 v[14:15], v[14:15], -v[94:95]
	v_add_f64 v[94:95], v[98:99], v[22:23]
	v_cmp_neq_f64_e64 vcc_lo, 0x7ff00000, |v[59:60]|
	v_add_f64 v[8:9], v[57:58], -v[8:9]
	v_add_f64 v[14:15], v[16:17], v[14:15]
	v_fract_f64_e32 v[16:17], v[59:60]
	v_add_f64 v[57:58], v[94:95], v[14:15]
	v_ldexp_f64 v[16:17], v[16:17], 2
	v_add_f64 v[59:60], v[8:9], v[57:58]
	v_cndmask_b32_e32 v17, 0, v17, vcc_lo
	v_cndmask_b32_e32 v16, 0, v16, vcc_lo
	v_add_f64 v[96:97], v[59:60], v[16:17]
	v_add_f64 v[8:9], v[59:60], -v[8:9]
	v_cmp_gt_f64_e32 vcc_lo, 0, v[96:97]
	v_add_f64 v[96:97], v[94:95], -v[98:99]
	v_add_f64 v[8:9], v[57:58], -v[8:9]
	v_cndmask_b32_e64 v101, 0, 0x40100000, vcc_lo
	v_add_f64 v[105:106], v[94:95], -v[96:97]
	v_add_f64 v[22:23], v[22:23], -v[96:97]
	v_add_f64 v[16:17], v[16:17], v[100:101]
	v_add_f64 v[101:102], v[57:58], -v[94:95]
	v_add_f64 v[96:97], v[98:99], -v[105:106]
	v_add_f64 v[103:104], v[59:60], v[16:17]
	;; [unrolled: 3-line block ×3, first 2 shown]
	v_cvt_i32_f64_e32 v2, v[103:104]
	v_add_f64 v[94:95], v[94:95], -v[107:108]
	v_cvt_f64_i32_e32 v[101:102], v2
	v_add_f64 v[14:15], v[14:15], v[94:95]
	v_add_f64 v[16:17], v[16:17], -v[101:102]
	v_add_f64 v[14:15], v[22:23], v[14:15]
	v_add_f64 v[20:21], v[59:60], v[16:17]
	;; [unrolled: 1-line block ×3, first 2 shown]
	v_add_f64 v[14:15], v[20:21], -v[16:17]
	v_cmp_le_f64_e32 vcc_lo, 0.5, v[20:21]
	v_add_f64 v[0:1], v[8:9], v[0:1]
	v_add_f64 v[8:9], v[59:60], -v[14:15]
	v_cndmask_b32_e64 v101, 0, 0x3ff00000, vcc_lo
	v_add_co_ci_u32_e64 v26, null, 0, v2, vcc_lo
	v_add_f64 v[0:1], v[0:1], v[8:9]
	v_add_f64 v[8:9], v[20:21], -v[100:101]
	v_add_f64 v[14:15], v[8:9], v[0:1]
	v_mul_f64 v[16:17], v[14:15], s[2:3]
	v_add_f64 v[8:9], v[14:15], -v[8:9]
	v_fma_f64 v[20:21], v[14:15], s[2:3], -v[16:17]
	v_add_f64 v[0:1], v[0:1], -v[8:9]
	v_fma_f64 v[8:9], v[14:15], s[4:5], v[20:21]
	v_fma_f64 v[0:1], v[0:1], s[2:3], v[8:9]
	v_add_f64 v[14:15], v[16:17], v[0:1]
	v_add_f64 v[8:9], v[14:15], -v[16:17]
	v_add_f64 v[16:17], v[0:1], -v[8:9]
.LBB1_74:
	s_or_saveexec_b32 s0, s0
	v_mul_f64 v[8:9], s[8:9], s[8:9]
	s_xor_b32 exec_lo, exec_lo, s0
	s_cbranch_execz .LBB1_76
; %bb.75:
	s_clause 0x1
	buffer_load_dword v2, off, s[100:103], 0
	buffer_load_dword v3, off, s[100:103], 0 offset:4
	s_mov_b32 s2, 0x6dc9c883
	s_mov_b32 s3, 0x3fe45f30
	;; [unrolled: 1-line block ×4, first 2 shown]
	s_waitcnt vmcnt(0)
	v_mul_f64 v[0:1], |v[2:3]|, s[2:3]
	s_mov_b32 s2, 0x54442d18
	s_mov_b32 s3, 0xbff921fb
	v_rndne_f64_e32 v[0:1], v[0:1]
	v_fma_f64 v[14:15], v[0:1], s[2:3], |v[2:3]|
	v_mul_f64 v[16:17], v[0:1], s[4:5]
	s_mov_b32 s2, 0x252049c0
	s_mov_b32 s3, 0xb97b839a
	v_cvt_i32_f64_e32 v26, v[0:1]
	v_fma_f64 v[22:23], v[0:1], s[4:5], v[14:15]
	v_add_f64 v[20:21], v[14:15], v[16:17]
	s_mov_b32 s5, 0x3c91a626
	v_add_f64 v[14:15], v[14:15], -v[20:21]
	v_add_f64 v[20:21], v[20:21], -v[22:23]
	v_add_f64 v[14:15], v[14:15], v[16:17]
	v_fma_f64 v[16:17], v[0:1], s[4:5], v[16:17]
	v_add_f64 v[14:15], v[20:21], v[14:15]
	v_add_f64 v[14:15], v[14:15], -v[16:17]
	v_fma_f64 v[16:17], v[0:1], s[2:3], v[14:15]
	v_add_f64 v[14:15], v[22:23], v[16:17]
	v_add_f64 v[20:21], v[14:15], -v[22:23]
	v_add_f64 v[16:17], v[16:17], -v[20:21]
.LBB1_76:
	s_or_b32 exec_lo, exec_lo, s0
	v_mul_f64 v[0:1], v[77:78], v[77:78]
	s_load_dwordx2 s[2:3], s[12:13], 0x18
	s_mov_b32 s12, 0x9037ab78
	s_mov_b32 s14, 0x46cc5e42
	;; [unrolled: 1-line block ×20, first 2 shown]
	v_mul_f64 v[20:21], v[0:1], 0.5
	v_fma_f64 v[59:60], v[0:1], s[14:15], s[12:13]
	s_mov_b32 s36, 0x11110bb3
	s_mov_b32 s37, 0x3f811111
	;; [unrolled: 1-line block ×4, first 2 shown]
	v_and_b32_e32 v2, 1, v93
	s_waitcnt lgkmcnt(0)
	v_writelane_b32 v127, s2, 2
	s_mov_b32 s39, 0x3fe55555
	s_mov_b32 s38, s24
	;; [unrolled: 1-line block ×3, first 2 shown]
	v_cmp_eq_u32_e32 vcc_lo, 0, v2
	v_writelane_b32 v127, s3, 3
	v_lshlrev_b32_e32 v2, 30, v93
	s_mov_b32 s42, 0x4222de17
	s_mov_b32 s41, 0x3fba6564
	;; [unrolled: 1-line block ×4, first 2 shown]
	v_xor_b32_e32 v2, s7, v2
	s_mov_b32 s58, 0xfefa39ef
	s_mov_b32 s45, 0x3fbe25e4
	;; [unrolled: 1-line block ×3, first 2 shown]
	v_add_f64 v[22:23], -v[20:21], 1.0
	v_fma_f64 v[59:60], v[0:1], v[59:60], s[18:19]
	v_and_b32_e32 v2, 0x80000000, v2
	s_mov_b32 s46, 0x47e6c9c2
	s_mov_b32 s47, 0x3fc110ef
	s_mov_b32 s48, 0xcfa74449
	s_mov_b32 s60, 0x3b39803f
	s_mov_b32 s49, 0x3fc3b13b
	s_mov_b32 s61, 0x3c7abc9e
	s_mov_b32 s50, 0x71bf3c30
	s_mov_b32 s51, 0x3fc745d1
	s_mov_b32 s52, 0x1c7792ce
	s_mov_b32 s53, 0x3fcc71c7
	s_mov_b32 s54, 0x924920da
	s_mov_b32 s55, 0x3fd24924
	s_mov_b32 s56, 0x9999999c
	s_mov_b32 s57, 0x3fd99999
	s_mov_b32 s69, 0xbfe55555
	s_mov_b32 s68, s24
	s_mov_b32 s62, 0xd5df274d
	s_mov_b32 s63, 0x3c8543b0
	s_mov_b32 s6, 0x3ff00000
	v_add_f64 v[57:58], -v[22:23], 1.0
	v_fma_f64 v[59:60], v[0:1], v[59:60], s[20:21]
	s_mov_b32 s64, 0x652b82fe
	s_mov_b32 s65, 0x3ff71547
	s_mov_b32 s87, 0xbfe62e42
	s_mov_b32 s86, s58
	s_mov_b32 s91, 0xbc7abc9e
	s_mov_b32 s90, s60
	s_mov_b32 s66, 0xfca7ab0c
	s_mov_b32 s72, 0x6a5dcb37
	s_mov_b32 s67, 0x3e928af3
	s_mov_b32 s73, 0x3e5ade15
	s_mov_b32 s74, 0x623fde64
	s_mov_b32 s75, 0x3ec71dee
	s_mov_b32 s76, 0x7c89e6b0
	s_mov_b32 s77, 0x3efa0199
	s_mov_b32 s78, 0x14761f6e
	s_mov_b32 s79, 0x3f2a01a0
	s_mov_b32 s80, 0x1852b7b0
	s_mov_b32 s81, 0x3f56c16c
	s_mov_b32 s82, 0x11122322
	s_mov_b32 s83, s37
	v_add_f64 v[20:21], v[57:58], -v[20:21]
	v_fma_f64 v[59:60], v[0:1], v[59:60], s[22:23]
	v_mul_f64 v[57:58], v[0:1], v[0:1]
	s_mov_b32 s84, 0x555502a1
	s_mov_b32 s85, s25
	;; [unrolled: 1-line block ×12, first 2 shown]
	s_mov_b32 vcc_hi, 0x3fd33333
	v_fma_f64 v[20:21], v[77:78], -v[79:80], v[20:21]
	v_fma_f64 v[59:60], v[0:1], v[59:60], s[24:25]
	v_fma_f64 v[20:21], v[57:58], v[59:60], v[20:21]
	v_mul_f64 v[57:58], v[77:78], -v[0:1]
	v_mul_f64 v[59:60], v[79:80], 0.5
	v_add_f64 v[20:21], v[22:23], v[20:21]
	v_fma_f64 v[22:23], v[0:1], s[28:29], s[26:27]
	v_fma_f64 v[22:23], v[0:1], v[22:23], s[30:31]
	;; [unrolled: 1-line block ×5, first 2 shown]
	v_fma_f64 v[0:1], v[0:1], v[22:23], -v[79:80]
	v_fma_f64 v[0:1], v[57:58], s[4:5], v[0:1]
	v_add_f64 v[0:1], v[77:78], -v[0:1]
	v_mov_b32_e32 v79, v5
	v_mov_b32_e32 v78, v4
	v_lshlrev_b32_e32 v4, 30, v92
	v_cmp_class_f64_e64 s2, v[78:79], 0x1f8
	v_bfi_b32 v79, 0x7fffffff, v79, v30
	buffer_store_dword v78, off, s[100:103], 0 offset:144 ; 4-byte Folded Spill
	buffer_store_dword v79, off, s[100:103], 0 offset:148 ; 4-byte Folded Spill
	v_cndmask_b32_e32 v0, v20, v0, vcc_lo
	v_cndmask_b32_e32 v1, v21, v1, vcc_lo
	v_mul_f64 v[20:21], v[6:7], v[6:7]
	v_cndmask_b32_e64 v0, 0, v0, s1
	v_xor_b32_e32 v1, v1, v2
	v_and_b32_e32 v2, 1, v92
	v_cndmask_b32_e64 v1, 0x7ff80000, v1, s1
	v_cmp_eq_u32_e32 vcc_lo, 0, v2
	v_mul_f64 v[22:23], v[20:21], 0.5
	v_fma_f64 v[76:77], v[20:21], s[14:15], s[12:13]
	v_add_f64 v[57:58], -v[22:23], 1.0
	v_fma_f64 v[76:77], v[20:21], v[76:77], s[18:19]
	v_add_f64 v[59:60], -v[57:58], 1.0
	v_fma_f64 v[76:77], v[20:21], v[76:77], s[20:21]
	v_add_f64 v[22:23], v[59:60], -v[22:23]
	v_fma_f64 v[76:77], v[20:21], v[76:77], s[22:23]
	v_mul_f64 v[59:60], v[20:21], v[20:21]
	v_fma_f64 v[22:23], v[6:7], -v[10:11], v[22:23]
	v_fma_f64 v[76:77], v[20:21], v[76:77], s[24:25]
	v_fma_f64 v[22:23], v[59:60], v[76:77], v[22:23]
	v_mul_f64 v[59:60], v[6:7], -v[20:21]
	v_mul_f64 v[76:77], v[10:11], 0.5
	v_add_f64 v[22:23], v[57:58], v[22:23]
	v_fma_f64 v[57:58], v[20:21], s[28:29], s[26:27]
	v_fma_f64 v[57:58], v[20:21], v[57:58], s[30:31]
	;; [unrolled: 1-line block ×5, first 2 shown]
	v_fma_f64 v[10:11], v[20:21], v[57:58], -v[10:11]
	v_fma_f64 v[10:11], v[59:60], s[4:5], v[10:11]
	v_xor_b32_e32 v4, v4, v79
	v_add_f64 v[6:7], v[6:7], -v[10:11]
	v_and_b32_e32 v4, 0x80000000, v4
	v_cndmask_b32_e32 v3, v23, v7, vcc_lo
	v_cndmask_b32_e32 v2, v22, v6, vcc_lo
	v_mul_f64 v[22:23], v[109:110], v[109:110]
	v_xor_b32_e32 v3, v3, v4
	v_cndmask_b32_e64 v6, 0, v2, s2
	s_clause 0x1
	buffer_load_dword v4, off, s[100:103], 0
	buffer_load_dword v5, off, s[100:103], 0 offset:4
	v_cndmask_b32_e64 v7, 0x7ff80000, v3, s2
	v_mul_f64 v[6:7], -v[0:1], v[6:7]
	v_fma_f64 v[0:1], v[109:110], v[109:110], v[8:9]
	v_cmp_gt_f64_e32 vcc_lo, 0x10000000, v[0:1]
	v_cndmask_b32_e64 v2, 0, 0x100, vcc_lo
	v_ldexp_f64 v[0:1], v[0:1], v2
	v_cndmask_b32_e64 v2, 0, 0xffffff80, vcc_lo
	v_rsq_f64_e32 v[10:11], v[0:1]
	v_cmp_class_f64_e64 vcc_lo, v[0:1], 0x260
	v_mul_f64 v[20:21], v[0:1], v[10:11]
	v_mul_f64 v[10:11], v[10:11], 0.5
	v_fma_f64 v[57:58], -v[10:11], v[20:21], 0.5
	v_fma_f64 v[20:21], v[20:21], v[57:58], v[20:21]
	v_fma_f64 v[10:11], v[10:11], v[57:58], v[10:11]
	v_fma_f64 v[59:60], -v[20:21], v[20:21], v[0:1]
	v_fma_f64 v[20:21], v[59:60], v[10:11], v[20:21]
	v_fma_f64 v[57:58], -v[20:21], v[20:21], v[0:1]
	v_fma_f64 v[10:11], v[57:58], v[10:11], v[20:21]
	v_ldexp_f64 v[10:11], v[10:11], v2
	v_and_b32_e32 v2, 1, v75
	v_cndmask_b32_e32 v1, v11, v1, vcc_lo
	v_cndmask_b32_e32 v0, v10, v0, vcc_lo
	v_mul_f64 v[10:11], v[12:13], v[12:13]
	v_cmp_eq_u32_e32 vcc_lo, 0, v2
	v_mul_f64 v[20:21], v[10:11], 0.5
	v_fma_f64 v[76:77], v[10:11], s[14:15], s[12:13]
	s_waitcnt vmcnt(0)
	v_cmp_class_f64_e64 s0, v[4:5], 0x1f8
	v_lshlrev_b32_e32 v4, 30, v75
	v_xor_b32_e32 v4, v4, v5
	v_add_f64 v[57:58], -v[20:21], 1.0
	v_fma_f64 v[76:77], v[10:11], v[76:77], s[18:19]
	v_and_b32_e32 v4, 0x80000000, v4
	v_add_f64 v[59:60], -v[57:58], 1.0
	v_fma_f64 v[76:77], v[10:11], v[76:77], s[20:21]
	v_add_f64 v[20:21], v[59:60], -v[20:21]
	v_fma_f64 v[76:77], v[10:11], v[76:77], s[22:23]
	v_mul_f64 v[59:60], v[10:11], v[10:11]
	v_fma_f64 v[20:21], v[12:13], -v[73:74], v[20:21]
	v_fma_f64 v[76:77], v[10:11], v[76:77], s[24:25]
	v_fma_f64 v[20:21], v[59:60], v[76:77], v[20:21]
	v_mul_f64 v[59:60], v[12:13], -v[10:11]
	v_mul_f64 v[76:77], v[73:74], 0.5
	v_add_f64 v[20:21], v[57:58], v[20:21]
	v_fma_f64 v[57:58], v[10:11], s[28:29], s[26:27]
	v_fma_f64 v[57:58], v[10:11], v[57:58], s[30:31]
	;; [unrolled: 1-line block ×5, first 2 shown]
	v_fma_f64 v[10:11], v[10:11], v[57:58], -v[73:74]
	v_mov_b32_e32 v73, 0x3ff00000
	v_fma_f64 v[10:11], v[59:60], s[4:5], v[10:11]
	v_add_f64 v[10:11], v[12:13], -v[10:11]
	v_cndmask_b32_e32 v3, v21, v11, vcc_lo
	v_cndmask_b32_e32 v2, v20, v10, vcc_lo
	v_xor_b32_e32 v3, v3, v4
	v_cndmask_b32_e64 v10, 0, v2, s0
	v_lshlrev_b32_e32 v4, 30, v91
	v_cndmask_b32_e64 v11, 0x7ff80000, v3, s0
	v_and_b32_e32 v3, 1, v91
	v_and_b32_e32 v4, 0x80000000, v4
	v_mul_f64 v[10:11], v[0:1], v[10:11]
	v_div_scale_f64 v[12:13], null, v[10:11], v[10:11], v[6:7]
	v_rcp_f64_e32 v[20:21], v[12:13]
	v_fma_f64 v[57:58], -v[12:13], v[20:21], 1.0
	v_fma_f64 v[20:21], v[20:21], v[57:58], v[20:21]
	v_fma_f64 v[57:58], -v[12:13], v[20:21], 1.0
	v_fma_f64 v[20:21], v[20:21], v[57:58], v[20:21]
	v_div_scale_f64 v[57:58], vcc_lo, v[6:7], v[10:11], v[6:7]
	v_mul_f64 v[59:60], v[57:58], v[20:21]
	v_fma_f64 v[12:13], -v[12:13], v[59:60], v[57:58]
	v_div_fmas_f64 v[12:13], v[12:13], v[20:21], v[59:60]
	v_cmp_eq_u32_e32 vcc_lo, 0, v3
	v_div_fixup_f64 v[20:21], v[12:13], v[10:11], v[6:7]
	v_mul_f64 v[6:7], v[69:70], v[69:70]
	v_mul_f64 v[10:11], v[6:7], 0.5
	v_fma_f64 v[59:60], v[6:7], s[14:15], s[12:13]
	v_add_f64 v[12:13], -v[10:11], 1.0
	v_fma_f64 v[59:60], v[6:7], v[59:60], s[18:19]
	v_add_f64 v[57:58], -v[12:13], 1.0
	v_fma_f64 v[59:60], v[6:7], v[59:60], s[20:21]
	v_add_f64 v[10:11], v[57:58], -v[10:11]
	v_fma_f64 v[59:60], v[6:7], v[59:60], s[22:23]
	v_mul_f64 v[57:58], v[6:7], v[6:7]
	v_fma_f64 v[10:11], v[69:70], -v[71:72], v[10:11]
	v_fma_f64 v[59:60], v[6:7], v[59:60], s[24:25]
	v_fma_f64 v[10:11], v[57:58], v[59:60], v[10:11]
	v_mul_f64 v[57:58], v[69:70], -v[6:7]
	v_mul_f64 v[59:60], v[71:72], 0.5
	v_add_f64 v[10:11], v[12:13], v[10:11]
	v_fma_f64 v[12:13], v[6:7], s[28:29], s[26:27]
	v_fma_f64 v[12:13], v[6:7], v[12:13], s[30:31]
	;; [unrolled: 1-line block ×5, first 2 shown]
	v_fma_f64 v[6:7], v[6:7], v[12:13], -v[71:72]
	v_fma_f64 v[6:7], v[57:58], s[4:5], v[6:7]
	v_add_f64 v[6:7], v[69:70], -v[6:7]
	v_xor_b32_e32 v2, 0x80000000, v7
	v_cndmask_b32_e32 v3, v6, v10, vcc_lo
	v_cndmask_b32_e32 v2, v2, v11, vcc_lo
	v_cndmask_b32_e64 v6, 0, v3, s1
	v_xor_b32_e32 v2, v2, v4
	v_lshlrev_b32_e32 v4, 30, v86
	v_cndmask_b32_e64 v7, 0x7ff80000, v2, s1
	v_and_b32_e32 v2, 1, v86
	v_xor_b32_e32 v4, s7, v4
	v_mul_f64 v[10:11], v[109:110], v[6:7]
	v_mul_f64 v[6:7], v[47:48], v[47:48]
	v_cmp_eq_u32_e32 vcc_lo, 0, v2
	v_and_b32_e32 v4, 0x80000000, v4
	v_mul_f64 v[12:13], v[6:7], 0.5
	v_fma_f64 v[69:70], v[6:7], s[14:15], s[12:13]
	v_add_f64 v[57:58], -v[12:13], 1.0
	v_fma_f64 v[69:70], v[6:7], v[69:70], s[18:19]
	v_add_f64 v[59:60], -v[57:58], 1.0
	v_fma_f64 v[69:70], v[6:7], v[69:70], s[20:21]
	v_add_f64 v[12:13], v[59:60], -v[12:13]
	v_fma_f64 v[69:70], v[6:7], v[69:70], s[22:23]
	v_mul_f64 v[59:60], v[6:7], v[6:7]
	v_fma_f64 v[12:13], v[47:48], -v[49:50], v[12:13]
	v_fma_f64 v[69:70], v[6:7], v[69:70], s[24:25]
	v_fma_f64 v[12:13], v[59:60], v[69:70], v[12:13]
	v_mul_f64 v[59:60], v[47:48], -v[6:7]
	v_mul_f64 v[69:70], v[49:50], 0.5
	v_add_f64 v[12:13], v[57:58], v[12:13]
	v_fma_f64 v[57:58], v[6:7], s[28:29], s[26:27]
	v_fma_f64 v[57:58], v[6:7], v[57:58], s[30:31]
	;; [unrolled: 1-line block ×5, first 2 shown]
	v_mov_b32_e32 v69, v109
	v_mov_b32_e32 v70, v110
	v_fma_f64 v[6:7], v[6:7], v[57:58], -v[49:50]
	v_fma_f64 v[6:7], v[59:60], s[4:5], v[6:7]
	v_add_f64 v[6:7], v[47:48], -v[6:7]
	v_cndmask_b32_e32 v2, v12, v6, vcc_lo
	v_cndmask_b32_e32 v3, v13, v7, vcc_lo
	v_mul_f64 v[12:13], v[53:54], v[53:54]
	v_cndmask_b32_e64 v6, 0, v2, s1
	v_xor_b32_e32 v3, v3, v4
	v_lshlrev_b32_e32 v4, 30, v87
	v_cndmask_b32_e64 v7, 0x7ff80000, v3, s1
	v_and_b32_e32 v3, 1, v87
	v_and_b32_e32 v4, 0x80000000, v4
	v_cmp_eq_u32_e32 vcc_lo, 0, v3
	v_mul_f64 v[47:48], v[12:13], 0.5
	v_fma_f64 v[59:60], v[12:13], s[14:15], s[12:13]
	v_add_f64 v[49:50], -v[47:48], 1.0
	v_fma_f64 v[59:60], v[12:13], v[59:60], s[18:19]
	v_add_f64 v[57:58], -v[49:50], 1.0
	v_fma_f64 v[59:60], v[12:13], v[59:60], s[20:21]
	v_add_f64 v[47:48], v[57:58], -v[47:48]
	v_fma_f64 v[59:60], v[12:13], v[59:60], s[22:23]
	v_mul_f64 v[57:58], v[12:13], v[12:13]
	v_fma_f64 v[47:48], v[53:54], -v[55:56], v[47:48]
	v_fma_f64 v[59:60], v[12:13], v[59:60], s[24:25]
	v_fma_f64 v[47:48], v[57:58], v[59:60], v[47:48]
	v_mul_f64 v[57:58], v[53:54], -v[12:13]
	v_mul_f64 v[59:60], v[55:56], 0.5
	v_add_f64 v[47:48], v[49:50], v[47:48]
	v_fma_f64 v[49:50], v[12:13], s[28:29], s[26:27]
	v_fma_f64 v[49:50], v[12:13], v[49:50], s[30:31]
	;; [unrolled: 1-line block ×5, first 2 shown]
	v_fma_f64 v[12:13], v[12:13], v[49:50], -v[55:56]
	v_fma_f64 v[12:13], v[57:58], s[4:5], v[12:13]
	v_add_f64 v[12:13], v[53:54], -v[12:13]
	v_xor_b32_e32 v2, 0x80000000, v13
	v_cndmask_b32_e32 v3, v12, v47, vcc_lo
	v_cndmask_b32_e32 v2, v2, v48, vcc_lo
	v_cndmask_b32_e64 v12, 0, v3, s2
	v_xor_b32_e32 v2, v2, v4
	v_lshlrev_b32_e32 v4, 30, v90
	v_cndmask_b32_e64 v13, 0x7ff80000, v2, s2
	v_and_b32_e32 v2, 1, v90
	v_xor_b32_e32 v4, v4, v5
	s_mov_b32 s2, 0x88e368f1
	s_mov_b32 s3, 0x3ee4f8b5
	v_mul_f64 v[6:7], -v[6:7], v[12:13]
	v_mul_f64 v[12:13], v[65:66], v[65:66]
	v_cmp_eq_u32_e32 vcc_lo, 0, v2
	v_and_b32_e32 v4, 0x80000000, v4
	v_mul_f64 v[47:48], v[12:13], 0.5
	v_fma_f64 v[55:56], v[12:13], s[14:15], s[12:13]
	v_add_f64 v[49:50], -v[47:48], 1.0
	v_fma_f64 v[55:56], v[12:13], v[55:56], s[18:19]
	v_add_f64 v[53:54], -v[49:50], 1.0
	v_fma_f64 v[55:56], v[12:13], v[55:56], s[20:21]
	v_add_f64 v[47:48], v[53:54], -v[47:48]
	v_fma_f64 v[55:56], v[12:13], v[55:56], s[22:23]
	v_mul_f64 v[53:54], v[12:13], v[12:13]
	v_fma_f64 v[47:48], v[65:66], -v[67:68], v[47:48]
	v_fma_f64 v[55:56], v[12:13], v[55:56], s[24:25]
	v_fma_f64 v[47:48], v[53:54], v[55:56], v[47:48]
	v_mul_f64 v[53:54], v[65:66], -v[12:13]
	v_mul_f64 v[55:56], v[67:68], 0.5
	v_add_f64 v[47:48], v[49:50], v[47:48]
	v_fma_f64 v[49:50], v[12:13], s[28:29], s[26:27]
	v_fma_f64 v[49:50], v[12:13], v[49:50], s[30:31]
	;; [unrolled: 1-line block ×5, first 2 shown]
	v_fma_f64 v[12:13], v[12:13], v[49:50], -v[67:68]
	v_mul_f64 v[49:50], v[24:25], v[24:25]
	v_fma_f64 v[12:13], v[53:54], s[4:5], v[12:13]
	v_mul_f64 v[53:54], v[49:50], 0.5
	v_fma_f64 v[59:60], v[49:50], s[14:15], s[12:13]
	v_add_f64 v[12:13], v[65:66], -v[12:13]
	v_add_f64 v[55:56], -v[53:54], 1.0
	v_fma_f64 v[59:60], v[49:50], v[59:60], s[18:19]
	v_cndmask_b32_e32 v3, v48, v13, vcc_lo
	v_add_f64 v[57:58], -v[55:56], 1.0
	v_fma_f64 v[59:60], v[49:50], v[59:60], s[20:21]
	v_cndmask_b32_e32 v2, v47, v12, vcc_lo
	v_mul_f64 v[47:48], v[0:1], v[6:7]
	v_xor_b32_e32 v3, v3, v4
	v_lshlrev_b32_e32 v4, 30, v81
	v_cndmask_b32_e64 v12, 0, v2, s0
	v_cndmask_b32_e64 v13, 0x7ff80000, v3, s0
	v_and_b32_e32 v3, 1, v81
	v_and_b32_e32 v4, 0x80000000, v4
	v_cmp_eq_u32_e32 vcc_lo, 0, v3
	v_add_f64 v[53:54], v[57:58], -v[53:54]
	v_fma_f64 v[59:60], v[49:50], v[59:60], s[22:23]
	v_mul_f64 v[57:58], v[49:50], v[49:50]
	v_fma_f64 v[53:54], v[24:25], -v[31:32], v[53:54]
	v_fma_f64 v[59:60], v[49:50], v[59:60], s[24:25]
	v_fma_f64 v[53:54], v[57:58], v[59:60], v[53:54]
	v_mul_f64 v[57:58], v[24:25], -v[49:50]
	v_mul_f64 v[59:60], v[31:32], 0.5
	v_add_f64 v[53:54], v[55:56], v[53:54]
	v_fma_f64 v[55:56], v[49:50], s[28:29], s[26:27]
	v_fma_f64 v[55:56], v[49:50], v[55:56], s[30:31]
	;; [unrolled: 1-line block ×5, first 2 shown]
	v_fma_f64 v[31:32], v[49:50], v[55:56], -v[31:32]
	v_fma_f64 v[31:32], v[57:58], s[4:5], v[31:32]
	v_add_f64 v[24:25], v[24:25], -v[31:32]
	v_mul_f64 v[31:32], v[33:34], v[33:34]
	v_xor_b32_e32 v2, 0x80000000, v25
	v_mul_f64 v[49:50], v[31:32], 0.5
	v_fma_f64 v[57:58], v[31:32], s[14:15], s[12:13]
	v_cndmask_b32_e32 v3, v24, v53, vcc_lo
	v_cndmask_b32_e32 v2, v2, v54, vcc_lo
	v_cndmask_b32_e64 v24, 0, v3, s0
	v_and_b32_e32 v3, 1, v82
	v_xor_b32_e32 v2, v2, v4
	v_lshlrev_b32_e32 v4, 30, v82
	v_cmp_eq_u32_e32 vcc_lo, 0, v3
	v_cndmask_b32_e64 v25, 0x7ff80000, v2, s0
	v_and_b32_e32 v4, 0x80000000, v4
	v_mul_f64 v[24:25], s[8:9], v[24:25]
	v_add_f64 v[53:54], -v[49:50], 1.0
	v_fma_f64 v[57:58], v[31:32], v[57:58], s[18:19]
	v_add_f64 v[55:56], -v[53:54], 1.0
	v_fma_f64 v[57:58], v[31:32], v[57:58], s[20:21]
	v_add_f64 v[49:50], v[55:56], -v[49:50]
	v_fma_f64 v[57:58], v[31:32], v[57:58], s[22:23]
	v_mul_f64 v[55:56], v[31:32], v[31:32]
	v_fma_f64 v[49:50], v[33:34], -v[35:36], v[49:50]
	v_fma_f64 v[57:58], v[31:32], v[57:58], s[24:25]
	v_fma_f64 v[49:50], v[55:56], v[57:58], v[49:50]
	v_mul_f64 v[55:56], v[33:34], -v[31:32]
	v_mul_f64 v[57:58], v[35:36], 0.5
	v_add_f64 v[49:50], v[53:54], v[49:50]
	v_fma_f64 v[53:54], v[31:32], s[28:29], s[26:27]
	v_fma_f64 v[53:54], v[31:32], v[53:54], s[30:31]
	;; [unrolled: 1-line block ×5, first 2 shown]
	v_fma_f64 v[31:32], v[31:32], v[53:54], -v[35:36]
	v_fma_f64 v[31:32], v[55:56], s[4:5], v[31:32]
	v_add_f64 v[31:32], v[33:34], -v[31:32]
	v_xor_b32_e32 v2, 0x80000000, v32
	v_cndmask_b32_e32 v3, v31, v49, vcc_lo
	v_cndmask_b32_e32 v2, v2, v50, vcc_lo
	v_cndmask_b32_e64 v31, 0, v3, s0
	v_and_b32_e32 v3, 1, v89
	v_xor_b32_e32 v2, v2, v4
	v_lshlrev_b32_e32 v4, 30, v89
	v_cmp_eq_u32_e32 vcc_lo, 0, v3
	v_cndmask_b32_e64 v32, 0x7ff80000, v2, s0
	v_and_b32_e32 v4, 0x80000000, v4
	v_mul_f64 v[31:32], s[8:9], v[31:32]
	v_fma_f64 v[24:25], v[24:25], v[31:32], v[22:23]
	v_mul_f64 v[31:32], v[61:62], v[61:62]
	v_mul_f64 v[33:34], v[31:32], 0.5
	v_fma_f64 v[53:54], v[31:32], s[14:15], s[12:13]
	v_add_f64 v[35:36], -v[33:34], 1.0
	v_fma_f64 v[53:54], v[31:32], v[53:54], s[18:19]
	v_add_f64 v[49:50], -v[35:36], 1.0
	v_fma_f64 v[53:54], v[31:32], v[53:54], s[20:21]
	v_add_f64 v[33:34], v[49:50], -v[33:34]
	v_fma_f64 v[53:54], v[31:32], v[53:54], s[22:23]
	v_mul_f64 v[49:50], v[31:32], v[31:32]
	v_fma_f64 v[33:34], v[61:62], -v[63:64], v[33:34]
	v_fma_f64 v[53:54], v[31:32], v[53:54], s[24:25]
	v_fma_f64 v[33:34], v[49:50], v[53:54], v[33:34]
	v_mul_f64 v[49:50], v[61:62], -v[31:32]
	v_mul_f64 v[53:54], v[63:64], 0.5
	v_add_f64 v[33:34], v[35:36], v[33:34]
	v_fma_f64 v[35:36], v[31:32], s[28:29], s[26:27]
	v_fma_f64 v[35:36], v[31:32], v[35:36], s[30:31]
	;; [unrolled: 1-line block ×5, first 2 shown]
	v_fma_f64 v[31:32], v[31:32], v[35:36], -v[63:64]
	v_fma_f64 v[31:32], v[49:50], s[4:5], v[31:32]
	v_add_f64 v[31:32], v[61:62], -v[31:32]
	v_xor_b32_e32 v2, 0x80000000, v32
	v_cndmask_b32_e32 v3, v31, v33, vcc_lo
	v_cndmask_b32_e32 v2, v2, v34, vcc_lo
	v_cndmask_b32_e64 v31, 0, v3, s0
	v_and_b32_e32 v3, 1, v84
	v_xor_b32_e32 v2, v2, v4
	v_lshlrev_b32_e32 v4, 30, v84
	v_cndmask_b32_e64 v32, 0x7ff80000, v2, s0
	v_and_b32_e32 v4, 0x80000000, v4
	v_mul_f64 v[31:32], v[47:48], v[31:32]
	v_fma_f64 v[10:11], v[10:11], v[12:13], v[31:32]
	v_div_scale_f64 v[12:13], null, v[24:25], v[24:25], -v[10:11]
	v_rcp_f64_e32 v[31:32], v[12:13]
	v_fma_f64 v[33:34], -v[12:13], v[31:32], 1.0
	v_fma_f64 v[31:32], v[31:32], v[33:34], v[31:32]
	v_fma_f64 v[33:34], -v[12:13], v[31:32], 1.0
	v_fma_f64 v[31:32], v[31:32], v[33:34], v[31:32]
	v_div_scale_f64 v[33:34], vcc_lo, -v[10:11], v[24:25], -v[10:11]
	v_mul_f64 v[35:36], v[33:34], v[31:32]
	v_fma_f64 v[12:13], -v[12:13], v[35:36], v[33:34]
	v_div_fmas_f64 v[12:13], v[12:13], v[31:32], v[35:36]
	v_cmp_eq_u32_e32 vcc_lo, 0, v3
	v_div_fixup_f64 v[31:32], v[12:13], v[24:25], -v[10:11]
	v_mul_f64 v[12:13], v[37:38], v[37:38]
	v_mul_f64 v[10:11], v[0:1], v[0:1]
	;; [unrolled: 1-line block ×3, first 2 shown]
	v_mul_f64 v[33:34], v[12:13], 0.5
	v_fma_f64 v[49:50], v[12:13], s[14:15], s[12:13]
	v_mul_f64 v[0:1], v[0:1], v[6:7]
	v_mul_f64 v[6:7], v[41:42], v[41:42]
	v_add_f64 v[35:36], -v[33:34], 1.0
	v_fma_f64 v[49:50], v[12:13], v[49:50], s[18:19]
	v_add_f64 v[47:48], -v[35:36], 1.0
	v_fma_f64 v[49:50], v[12:13], v[49:50], s[20:21]
	v_add_f64 v[33:34], v[47:48], -v[33:34]
	v_fma_f64 v[49:50], v[12:13], v[49:50], s[22:23]
	v_mul_f64 v[47:48], v[12:13], v[12:13]
	v_fma_f64 v[33:34], v[37:38], -v[39:40], v[33:34]
	v_fma_f64 v[49:50], v[12:13], v[49:50], s[24:25]
	v_fma_f64 v[33:34], v[47:48], v[49:50], v[33:34]
	v_mul_f64 v[47:48], v[37:38], -v[12:13]
	v_mul_f64 v[49:50], v[39:40], 0.5
	v_add_f64 v[33:34], v[35:36], v[33:34]
	v_fma_f64 v[35:36], v[12:13], s[28:29], s[26:27]
	v_fma_f64 v[35:36], v[12:13], v[35:36], s[30:31]
	;; [unrolled: 1-line block ×5, first 2 shown]
	v_fma_f64 v[12:13], v[12:13], v[35:36], -v[39:40]
	v_fma_f64 v[12:13], v[47:48], s[4:5], v[12:13]
	v_add_f64 v[12:13], v[37:38], -v[12:13]
	v_xor_b32_e32 v2, 0x80000000, v13
	v_cndmask_b32_e32 v3, v12, v33, vcc_lo
	v_cndmask_b32_e32 v2, v2, v34, vcc_lo
	v_cndmask_b32_e64 v12, 0, v3, s1
	v_and_b32_e32 v3, 1, v85
	v_xor_b32_e32 v2, v2, v4
	v_lshlrev_b32_e32 v4, 30, v85
	v_cmp_eq_u32_e32 vcc_lo, 0, v3
	v_cndmask_b32_e64 v13, 0x7ff80000, v2, s1
	v_and_b32_e32 v4, 0x80000000, v4
	v_mul_f64 v[10:11], v[10:11], v[12:13]
	v_mul_f64 v[12:13], v[43:44], v[43:44]
	v_mul_f64 v[33:34], v[12:13], 0.5
	v_fma_f64 v[39:40], v[12:13], s[14:15], s[12:13]
	v_add_f64 v[35:36], -v[33:34], 1.0
	v_fma_f64 v[39:40], v[12:13], v[39:40], s[18:19]
	v_add_f64 v[37:38], -v[35:36], 1.0
	v_fma_f64 v[39:40], v[12:13], v[39:40], s[20:21]
	v_add_f64 v[33:34], v[37:38], -v[33:34]
	v_fma_f64 v[39:40], v[12:13], v[39:40], s[22:23]
	v_mul_f64 v[37:38], v[12:13], v[12:13]
	v_fma_f64 v[33:34], v[43:44], -v[45:46], v[33:34]
	v_fma_f64 v[39:40], v[12:13], v[39:40], s[24:25]
	v_fma_f64 v[33:34], v[37:38], v[39:40], v[33:34]
	v_mul_f64 v[37:38], v[43:44], -v[12:13]
	v_mul_f64 v[39:40], v[45:46], 0.5
	v_add_f64 v[33:34], v[35:36], v[33:34]
	v_fma_f64 v[35:36], v[12:13], s[28:29], s[26:27]
	v_fma_f64 v[35:36], v[12:13], v[35:36], s[30:31]
	;; [unrolled: 1-line block ×5, first 2 shown]
	v_fma_f64 v[12:13], v[12:13], v[35:36], -v[45:46]
	v_fma_f64 v[12:13], v[37:38], s[4:5], v[12:13]
	v_fma_f64 v[37:38], v[6:7], s[14:15], s[12:13]
	v_add_f64 v[12:13], v[43:44], -v[12:13]
	v_fma_f64 v[37:38], v[6:7], v[37:38], s[18:19]
	v_xor_b32_e32 v2, 0x80000000, v13
	v_cndmask_b32_e32 v3, v12, v33, vcc_lo
	v_fma_f64 v[37:38], v[6:7], v[37:38], s[20:21]
	v_cndmask_b32_e32 v2, v2, v34, vcc_lo
	v_cndmask_b32_e64 v12, 0, v3, s0
	v_xor_b32_e32 v2, v2, v4
	v_lshlrev_b32_e32 v4, 30, v83
	v_cndmask_b32_e64 v13, 0x7ff80000, v2, s0
	v_and_b32_e32 v2, 1, v83
	v_xor_b32_e32 v4, v4, v5
	v_mul_f64 v[10:11], v[10:11], v[12:13]
	v_mul_f64 v[12:13], v[6:7], 0.5
	v_cmp_eq_u32_e32 vcc_lo, 0, v2
	v_and_b32_e32 v4, 0x80000000, v4
	v_fma_f64 v[37:38], v[6:7], v[37:38], s[22:23]
	v_add_f64 v[33:34], -v[12:13], 1.0
	v_fma_f64 v[37:38], v[6:7], v[37:38], s[24:25]
	v_add_f64 v[35:36], -v[33:34], 1.0
	v_add_f64 v[12:13], v[35:36], -v[12:13]
	v_mul_f64 v[35:36], v[6:7], v[6:7]
	v_fma_f64 v[12:13], v[41:42], -v[51:52], v[12:13]
	v_fma_f64 v[12:13], v[35:36], v[37:38], v[12:13]
	v_mul_f64 v[35:36], v[41:42], -v[6:7]
	v_mul_f64 v[37:38], v[51:52], 0.5
	v_add_f64 v[12:13], v[33:34], v[12:13]
	v_fma_f64 v[33:34], v[6:7], s[28:29], s[26:27]
	v_fma_f64 v[33:34], v[6:7], v[33:34], s[30:31]
	;; [unrolled: 1-line block ×5, first 2 shown]
	v_fma_f64 v[6:7], v[6:7], v[33:34], -v[51:52]
	v_fma_f64 v[6:7], v[35:36], s[4:5], v[6:7]
	v_add_f64 v[6:7], v[41:42], -v[6:7]
	v_cndmask_b32_e32 v3, v13, v7, vcc_lo
	v_cndmask_b32_e32 v2, v12, v6, vcc_lo
	v_xor_b32_e32 v3, v3, v4
	v_cndmask_b32_e64 v6, 0, v2, s0
	v_cndmask_b32_e64 v7, 0x7ff80000, v3, s0
	v_fma_f64 v[0:1], v[0:1], v[6:7], -v[10:11]
	v_div_scale_f64 v[6:7], null, v[24:25], v[24:25], -v[0:1]
	v_rcp_f64_e32 v[10:11], v[6:7]
	v_fma_f64 v[12:13], -v[6:7], v[10:11], 1.0
	v_fma_f64 v[10:11], v[10:11], v[12:13], v[10:11]
	v_fma_f64 v[12:13], -v[6:7], v[10:11], 1.0
	v_fma_f64 v[10:11], v[10:11], v[12:13], v[10:11]
	v_div_scale_f64 v[12:13], vcc_lo, -v[0:1], v[24:25], -v[0:1]
	v_mul_f64 v[33:34], v[12:13], v[10:11]
	v_fma_f64 v[6:7], -v[6:7], v[33:34], v[12:13]
	v_div_fmas_f64 v[6:7], v[6:7], v[10:11], v[33:34]
	v_div_fixup_f64 v[33:34], v[6:7], v[24:25], -v[0:1]
	v_add_f64 v[0:1], -v[8:9], 1.0
	v_cmp_gt_f64_e32 vcc_lo, 0x10000000, v[0:1]
	s_and_b32 s1, vcc_lo, exec_lo
	s_cselect_b32 s1, 0x100, 0
	v_ldexp_f64 v[6:7], v[0:1], s1
	s_cselect_b32 s1, 0xffffff80, 0
	v_rsq_f64_e32 v[10:11], v[6:7]
	v_cmp_class_f64_e64 vcc_lo, v[6:7], 0x260
	v_mul_f64 v[12:13], v[6:7], v[10:11]
	v_mul_f64 v[10:11], v[10:11], 0.5
	v_fma_f64 v[35:36], -v[10:11], v[12:13], 0.5
	v_fma_f64 v[12:13], v[12:13], v[35:36], v[12:13]
	v_fma_f64 v[10:11], v[10:11], v[35:36], v[10:11]
	v_fma_f64 v[37:38], -v[12:13], v[12:13], v[6:7]
	v_fma_f64 v[12:13], v[37:38], v[10:11], v[12:13]
	v_fma_f64 v[35:36], -v[12:13], v[12:13], v[6:7]
	v_fma_f64 v[10:11], v[35:36], v[10:11], v[12:13]
	v_ldexp_f64 v[10:11], v[10:11], s1
	v_cndmask_b32_e32 v7, v11, v7, vcc_lo
	v_cndmask_b32_e32 v6, v10, v6, vcc_lo
	v_cmp_eq_f64_e32 vcc_lo, 1.0, v[0:1]
	v_add_f64 v[6:7], v[6:7], 1.0
	s_and_b32 s1, vcc_lo, exec_lo
	v_add_f64 v[2:3], v[6:7], s[2:3]
	v_frexp_mant_f64_e64 v[6:7], |v[0:1]|
	buffer_store_dword v2, off, s[100:103], 0 offset:160 ; 4-byte Folded Spill
	buffer_store_dword v3, off, s[100:103], 0 offset:164 ; 4-byte Folded Spill
	v_cmp_gt_f64_e32 vcc_lo, s[38:39], v[6:7]
	v_frexp_exp_i32_f64_e32 v2, v[0:1]
	s_cselect_b32 s3, s6, 0x3fd55555
	s_cselect_b32 s2, 0, 0x55555555
	v_cndmask_b32_e64 v3, 0, 1, vcc_lo
	v_subrev_co_ci_u32_e64 v2, null, 0, v2, vcc_lo
	v_ldexp_f64 v[6:7], v[6:7], v3
	v_add_f64 v[12:13], v[6:7], 1.0
	v_add_f64 v[10:11], v[6:7], -1.0
	v_add_f64 v[35:36], v[12:13], -1.0
	v_add_f64 v[6:7], v[6:7], -v[35:36]
	v_rcp_f64_e32 v[35:36], v[12:13]
	v_fma_f64 v[37:38], -v[12:13], v[35:36], 1.0
	v_fma_f64 v[35:36], v[37:38], v[35:36], v[35:36]
	v_fma_f64 v[37:38], -v[12:13], v[35:36], 1.0
	v_fma_f64 v[35:36], v[37:38], v[35:36], v[35:36]
	v_mul_f64 v[37:38], v[10:11], v[35:36]
	v_mul_f64 v[39:40], v[12:13], v[37:38]
	v_fma_f64 v[12:13], v[37:38], v[12:13], -v[39:40]
	v_fma_f64 v[6:7], v[37:38], v[6:7], v[12:13]
	v_add_f64 v[12:13], v[39:40], v[6:7]
	v_add_f64 v[41:42], v[10:11], -v[12:13]
	v_add_f64 v[39:40], v[12:13], -v[39:40]
	;; [unrolled: 1-line block ×4, first 2 shown]
	v_cvt_f64_i32_e32 v[39:40], v2
	v_add_f64 v[10:11], v[10:11], -v[12:13]
	v_add_f64 v[6:7], v[6:7], v[10:11]
	v_add_f64 v[6:7], v[41:42], v[6:7]
	v_mul_f64 v[41:42], v[39:40], s[58:59]
	v_mul_f64 v[6:7], v[35:36], v[6:7]
	v_fma_f64 v[43:44], v[39:40], s[58:59], -v[41:42]
	v_add_f64 v[10:11], v[37:38], v[6:7]
	v_fma_f64 v[39:40], v[39:40], s[60:61], v[43:44]
	v_add_f64 v[12:13], v[10:11], -v[37:38]
	v_add_f64 v[43:44], v[41:42], v[39:40]
	v_add_f64 v[6:7], v[6:7], -v[12:13]
	v_mul_f64 v[12:13], v[10:11], v[10:11]
	v_add_f64 v[41:42], v[43:44], -v[41:42]
	v_add_f64 v[37:38], v[6:7], v[6:7]
	v_fma_f64 v[35:36], v[10:11], v[10:11], -v[12:13]
	v_ldexp_f64 v[45:46], v[6:7], 1
	v_add_f64 v[39:40], v[39:40], -v[41:42]
	v_ldexp_f64 v[41:42], v[10:11], 1
	v_fma_f64 v[35:36], v[10:11], v[37:38], v[35:36]
	v_add_f64 v[37:38], v[12:13], v[35:36]
	v_add_f64 v[12:13], v[37:38], -v[12:13]
	v_mul_f64 v[47:48], v[10:11], v[37:38]
	v_add_f64 v[12:13], v[35:36], -v[12:13]
	v_fma_f64 v[35:36], v[37:38], s[42:43], s[40:41]
	v_fma_f64 v[49:50], v[37:38], v[10:11], -v[47:48]
	v_fma_f64 v[35:36], v[37:38], v[35:36], s[44:45]
	v_fma_f64 v[6:7], v[37:38], v[6:7], v[49:50]
	v_fma_f64 v[35:36], v[37:38], v[35:36], s[46:47]
	v_fma_f64 v[6:7], v[12:13], v[10:11], v[6:7]
	v_fma_f64 v[35:36], v[37:38], v[35:36], s[48:49]
	v_add_f64 v[10:11], v[47:48], v[6:7]
	v_fma_f64 v[35:36], v[37:38], v[35:36], s[50:51]
	v_add_f64 v[47:48], v[10:11], -v[47:48]
	v_fma_f64 v[35:36], v[37:38], v[35:36], s[52:53]
	v_add_f64 v[6:7], v[6:7], -v[47:48]
	v_fma_f64 v[35:36], v[37:38], v[35:36], s[54:55]
	v_fma_f64 v[35:36], v[37:38], v[35:36], s[56:57]
	v_mul_f64 v[47:48], v[37:38], v[35:36]
	v_fma_f64 v[37:38], v[37:38], v[35:36], -v[47:48]
	v_fma_f64 v[12:13], v[12:13], v[35:36], v[37:38]
	v_add_f64 v[35:36], v[47:48], v[12:13]
	v_add_f64 v[37:38], v[35:36], -v[47:48]
	v_add_f64 v[12:13], v[12:13], -v[37:38]
	v_add_f64 v[37:38], v[35:36], s[38:39]
	v_add_f64 v[12:13], v[12:13], s[62:63]
	;; [unrolled: 1-line block ×3, first 2 shown]
	v_add_f64 v[35:36], v[35:36], -v[47:48]
	v_add_f64 v[12:13], v[12:13], v[35:36]
	v_add_f64 v[35:36], v[37:38], v[12:13]
	v_add_f64 v[37:38], v[37:38], -v[35:36]
	v_add_f64 v[12:13], v[12:13], v[37:38]
	v_mul_f64 v[37:38], v[10:11], v[35:36]
	v_fma_f64 v[47:48], v[10:11], v[35:36], -v[37:38]
	v_fma_f64 v[10:11], v[10:11], v[12:13], v[47:48]
	v_fma_f64 v[6:7], v[6:7], v[35:36], v[10:11]
	v_add_f64 v[10:11], v[37:38], v[6:7]
	v_add_f64 v[12:13], v[10:11], -v[37:38]
	v_add_f64 v[6:7], v[6:7], -v[12:13]
	v_add_f64 v[12:13], v[41:42], v[10:11]
	v_add_f64 v[6:7], v[45:46], v[6:7]
	v_add_f64 v[35:36], v[12:13], -v[41:42]
	v_mov_b32_e32 v46, 0
	v_mov_b32_e32 v47, 0
	v_add_f64 v[10:11], v[10:11], -v[35:36]
	v_add_f64 v[6:7], v[6:7], v[10:11]
	v_add_f64 v[10:11], v[12:13], v[6:7]
	v_add_f64 v[12:13], v[10:11], -v[12:13]
	v_add_f64 v[6:7], v[6:7], -v[12:13]
	v_add_f64 v[12:13], v[43:44], v[10:11]
	v_add_f64 v[35:36], v[12:13], -v[43:44]
	v_add_f64 v[37:38], v[12:13], -v[35:36]
	;; [unrolled: 1-line block ×3, first 2 shown]
	v_add_f64 v[35:36], v[39:40], v[6:7]
	v_add_f64 v[37:38], v[43:44], -v[37:38]
	v_add_f64 v[10:11], v[10:11], v[37:38]
	v_add_f64 v[37:38], v[35:36], -v[39:40]
	;; [unrolled: 2-line block ×3, first 2 shown]
	v_add_f64 v[6:7], v[6:7], -v[37:38]
	v_add_f64 v[35:36], v[12:13], v[10:11]
	v_add_f64 v[39:40], v[39:40], -v[41:42]
	v_add_f64 v[12:13], v[35:36], -v[12:13]
	v_add_f64 v[6:7], v[6:7], v[39:40]
	v_add_f64 v[10:11], v[10:11], -v[12:13]
	v_add_f64 v[6:7], v[6:7], v[10:11]
	v_add_f64 v[10:11], v[35:36], v[6:7]
	v_add_f64 v[12:13], v[10:11], -v[35:36]
	v_add_f64 v[6:7], v[6:7], -v[12:13]
	v_mul_f64 v[12:13], s[2:3], v[10:11]
	v_fma_f64 v[10:11], s[2:3], v[10:11], -v[12:13]
	v_cmp_class_f64_e64 vcc_lo, v[12:13], 0x204
	v_fma_f64 v[6:7], s[2:3], v[6:7], v[10:11]
	v_add_f64 v[10:11], v[12:13], v[6:7]
	v_add_f64 v[35:36], v[10:11], -v[12:13]
	v_cndmask_b32_e32 v11, v11, v13, vcc_lo
	v_cndmask_b32_e32 v10, v10, v12, vcc_lo
	v_mul_f64 v[12:13], v[10:11], s[64:65]
	v_cmp_neq_f64_e64 vcc_lo, 0x7ff00000, |v[10:11]|
	v_cmp_ngt_f64_e64 s1, 0xc090cc00, v[10:11]
	v_add_f64 v[6:7], v[6:7], -v[35:36]
	v_rndne_f64_e32 v[12:13], v[12:13]
	v_cndmask_b32_e32 v7, 0, v7, vcc_lo
	v_cndmask_b32_e32 v6, 0, v6, vcc_lo
	v_cmp_nlt_f64_e32 vcc_lo, 0x40900000, v[10:11]
	v_fma_f64 v[35:36], v[12:13], s[86:87], v[10:11]
	v_cvt_i32_f64_e32 v2, v[12:13]
	s_and_b32 s10, s1, vcc_lo
	s_and_b32 s10, s10, exec_lo
	v_fma_f64 v[35:36], v[12:13], s[90:91], v[35:36]
	v_fma_f64 v[37:38], v[35:36], s[72:73], s[66:67]
	v_fma_f64 v[37:38], v[35:36], v[37:38], s[74:75]
	v_fma_f64 v[37:38], v[35:36], v[37:38], s[76:77]
	v_fma_f64 v[37:38], v[35:36], v[37:38], s[78:79]
	v_fma_f64 v[37:38], v[35:36], v[37:38], s[80:81]
	v_fma_f64 v[37:38], v[35:36], v[37:38], s[82:83]
	v_fma_f64 v[37:38], v[35:36], v[37:38], s[84:85]
	v_fma_f64 v[37:38], v[35:36], v[37:38], s[70:71]
	v_fma_f64 v[37:38], v[35:36], v[37:38], s[88:89]
	v_fma_f64 v[37:38], v[35:36], v[37:38], 1.0
	v_fma_f64 v[35:36], v[35:36], v[37:38], 1.0
	v_ldexp_f64 v[12:13], v[35:36], v2
	v_readfirstlane_b32 s7, v12
	v_cndmask_b32_e32 v2, 0x7ff00000, v13, vcc_lo
	s_cselect_b32 s7, s7, 0
	v_cndmask_b32_e64 v11, 0, v2, s1
	v_mov_b32_e32 v10, s7
	v_fma_f64 v[6:7], v[10:11], v[6:7], v[10:11]
	v_cmp_class_f64_e64 vcc_lo, v[10:11], 0x204
	v_readfirstlane_b32 s1, v6
	v_cndmask_b32_e32 v6, v7, v11, vcc_lo
	v_trunc_f64_e32 v[10:11], s[2:3]
	s_and_b32 s10, vcc_lo, exec_lo
	s_cselect_b32 s7, s7, s1
	v_cmp_eq_f64_e32 vcc_lo, s[2:3], v[10:11]
	v_mul_f64 v[10:11], s[2:3], 0.5
	v_cmp_gt_f64_e64 s2, 0, v[0:1]
	v_trunc_f64_e32 v[12:13], v[10:11]
	v_cmp_neq_f64_e64 s1, v[12:13], v[10:11]
	s_and_b32 s1, vcc_lo, s1
	s_and_b32 s3, vcc_lo, exec_lo
	v_cndmask_b32_e64 v2, 0x3ff00000, v1, s1
	s_cselect_b32 s3, s7, 0
	s_and_b32 s10, s2, exec_lo
	s_cselect_b32 s3, s3, s7
	v_bfi_b32 v2, 0x7fffffff, v6, v2
	v_add_f64 v[6:7], s[8:9], 1.0
	v_cndmask_b32_e32 v3, 0x7ff80000, v2, vcc_lo
	v_cmp_eq_f64_e32 vcc_lo, 0, v[0:1]
	v_cndmask_b32_e64 v2, v2, v3, s2
	v_cmp_class_f64_e64 s2, v[0:1], 0x204
	v_cndmask_b32_e64 v3, 0, v1, s1
	v_frexp_mant_f64_e64 v[10:11], |v[6:7]|
	s_or_b32 s2, vcc_lo, s2
	s_and_b32 s7, vcc_lo, exec_lo
	v_cmp_o_f64_e32 vcc_lo, v[0:1], v[0:1]
	s_cselect_b32 s7, 0, 0x7ff00000
	s_and_b32 s1, s2, exec_lo
	v_bfi_b32 v3, 0x7fffffff, s7, v3
	s_cselect_b32 s1, 0, s3
	v_cndmask_b32_e64 v2, v2, v3, s2
	s_and_b32 s2, vcc_lo, exec_lo
	v_cndmask_b32_e32 v1, 0x7ff80000, v2, vcc_lo
	v_cmp_eq_f64_e32 vcc_lo, 1.0, v[6:7]
	s_cselect_b32 s1, s1, 0
	v_frexp_exp_i32_f64_e32 v2, v[6:7]
	v_mov_b32_e32 v0, s1
	s_and_b32 s1, vcc_lo, exec_lo
	v_cmp_gt_f64_e32 vcc_lo, s[38:39], v[10:11]
	s_cselect_b32 s3, s6, 0x3fd55555
	s_cselect_b32 s2, 0, 0x55555555
	v_cndmask_b32_e64 v3, 0, 1, vcc_lo
	v_subrev_co_ci_u32_e64 v2, null, 0, v2, vcc_lo
	v_ldexp_f64 v[10:11], v[10:11], v3
	v_add_f64 v[35:36], v[10:11], 1.0
	v_add_f64 v[12:13], v[10:11], -1.0
	v_add_f64 v[37:38], v[35:36], -1.0
	v_add_f64 v[10:11], v[10:11], -v[37:38]
	v_rcp_f64_e32 v[37:38], v[35:36]
	v_fma_f64 v[39:40], -v[35:36], v[37:38], 1.0
	v_fma_f64 v[37:38], v[39:40], v[37:38], v[37:38]
	v_fma_f64 v[39:40], -v[35:36], v[37:38], 1.0
	v_fma_f64 v[37:38], v[39:40], v[37:38], v[37:38]
	v_mul_f64 v[39:40], v[12:13], v[37:38]
	v_mul_f64 v[41:42], v[35:36], v[39:40]
	v_fma_f64 v[35:36], v[39:40], v[35:36], -v[41:42]
	v_fma_f64 v[10:11], v[39:40], v[10:11], v[35:36]
	v_add_f64 v[35:36], v[41:42], v[10:11]
	v_add_f64 v[43:44], v[12:13], -v[35:36]
	v_add_f64 v[41:42], v[35:36], -v[41:42]
	;; [unrolled: 1-line block ×4, first 2 shown]
	v_cvt_f64_i32_e32 v[41:42], v2
	v_add_f64 v[12:13], v[12:13], -v[35:36]
	v_add_f64 v[10:11], v[10:11], v[12:13]
	v_add_f64 v[10:11], v[43:44], v[10:11]
	v_mul_f64 v[43:44], v[41:42], s[58:59]
	v_mul_f64 v[10:11], v[37:38], v[10:11]
	v_fma_f64 v[48:49], v[41:42], s[58:59], -v[43:44]
	v_add_f64 v[12:13], v[39:40], v[10:11]
	v_fma_f64 v[41:42], v[41:42], s[60:61], v[48:49]
	v_add_f64 v[35:36], v[12:13], -v[39:40]
	v_add_f64 v[48:49], v[43:44], v[41:42]
	v_add_f64 v[10:11], v[10:11], -v[35:36]
	v_mul_f64 v[35:36], v[12:13], v[12:13]
	v_add_f64 v[43:44], v[48:49], -v[43:44]
	v_add_f64 v[39:40], v[10:11], v[10:11]
	v_fma_f64 v[37:38], v[12:13], v[12:13], -v[35:36]
	v_ldexp_f64 v[50:51], v[10:11], 1
	v_add_f64 v[41:42], v[41:42], -v[43:44]
	v_ldexp_f64 v[43:44], v[12:13], 1
	v_fma_f64 v[37:38], v[12:13], v[39:40], v[37:38]
	v_add_f64 v[39:40], v[35:36], v[37:38]
	v_add_f64 v[35:36], v[39:40], -v[35:36]
	v_mul_f64 v[52:53], v[12:13], v[39:40]
	v_add_f64 v[35:36], v[37:38], -v[35:36]
	v_fma_f64 v[37:38], v[39:40], s[42:43], s[40:41]
	v_fma_f64 v[54:55], v[39:40], v[12:13], -v[52:53]
	v_fma_f64 v[37:38], v[39:40], v[37:38], s[44:45]
	v_fma_f64 v[10:11], v[39:40], v[10:11], v[54:55]
	;; [unrolled: 1-line block ×5, first 2 shown]
	v_add_f64 v[12:13], v[52:53], v[10:11]
	v_fma_f64 v[37:38], v[39:40], v[37:38], s[50:51]
	v_add_f64 v[52:53], v[12:13], -v[52:53]
	v_fma_f64 v[37:38], v[39:40], v[37:38], s[52:53]
	v_add_f64 v[10:11], v[10:11], -v[52:53]
	v_fma_f64 v[37:38], v[39:40], v[37:38], s[54:55]
	v_fma_f64 v[37:38], v[39:40], v[37:38], s[56:57]
	v_mul_f64 v[52:53], v[39:40], v[37:38]
	v_fma_f64 v[39:40], v[39:40], v[37:38], -v[52:53]
	v_fma_f64 v[35:36], v[35:36], v[37:38], v[39:40]
	v_add_f64 v[37:38], v[52:53], v[35:36]
	v_add_f64 v[39:40], v[37:38], -v[52:53]
	v_add_f64 v[35:36], v[35:36], -v[39:40]
	v_add_f64 v[39:40], v[37:38], s[38:39]
	v_add_f64 v[35:36], v[35:36], s[62:63]
	;; [unrolled: 1-line block ×3, first 2 shown]
	v_add_f64 v[37:38], v[37:38], -v[52:53]
	v_add_f64 v[35:36], v[35:36], v[37:38]
	v_add_f64 v[37:38], v[39:40], v[35:36]
	v_add_f64 v[39:40], v[39:40], -v[37:38]
	v_add_f64 v[35:36], v[35:36], v[39:40]
	v_mul_f64 v[39:40], v[12:13], v[37:38]
	v_fma_f64 v[52:53], v[12:13], v[37:38], -v[39:40]
	v_fma_f64 v[12:13], v[12:13], v[35:36], v[52:53]
	v_fma_f64 v[10:11], v[10:11], v[37:38], v[12:13]
	v_add_f64 v[12:13], v[39:40], v[10:11]
	v_add_f64 v[35:36], v[12:13], -v[39:40]
	v_add_f64 v[10:11], v[10:11], -v[35:36]
	v_add_f64 v[35:36], v[43:44], v[12:13]
	v_add_f64 v[10:11], v[50:51], v[10:11]
	v_add_f64 v[37:38], v[35:36], -v[43:44]
	v_add_f64 v[12:13], v[12:13], -v[37:38]
	v_add_f64 v[10:11], v[10:11], v[12:13]
	;; [unrolled: 4-line block ×3, first 2 shown]
	v_add_f64 v[37:38], v[35:36], -v[48:49]
	v_add_f64 v[39:40], v[35:36], -v[37:38]
	;; [unrolled: 1-line block ×3, first 2 shown]
	v_add_f64 v[37:38], v[41:42], v[10:11]
	v_add_f64 v[39:40], v[48:49], -v[39:40]
	v_add_f64 v[12:13], v[12:13], v[39:40]
	v_add_f64 v[39:40], v[37:38], -v[41:42]
	;; [unrolled: 2-line block ×3, first 2 shown]
	v_add_f64 v[10:11], v[10:11], -v[39:40]
	v_add_f64 v[37:38], v[35:36], v[12:13]
	v_add_f64 v[41:42], v[41:42], -v[43:44]
	v_add_f64 v[35:36], v[37:38], -v[35:36]
	v_add_f64 v[10:11], v[10:11], v[41:42]
	v_add_f64 v[12:13], v[12:13], -v[35:36]
	v_add_f64 v[10:11], v[10:11], v[12:13]
	v_add_f64 v[12:13], v[37:38], v[10:11]
	v_add_f64 v[35:36], v[12:13], -v[37:38]
	v_add_f64 v[10:11], v[10:11], -v[35:36]
	v_mul_f64 v[35:36], s[2:3], v[12:13]
	v_fma_f64 v[12:13], s[2:3], v[12:13], -v[35:36]
	v_cmp_class_f64_e64 vcc_lo, v[35:36], 0x204
	v_fma_f64 v[10:11], s[2:3], v[10:11], v[12:13]
	v_add_f64 v[12:13], v[35:36], v[10:11]
	v_add_f64 v[37:38], v[12:13], -v[35:36]
	v_cndmask_b32_e32 v13, v13, v36, vcc_lo
	v_cndmask_b32_e32 v12, v12, v35, vcc_lo
	v_mul_f64 v[35:36], v[12:13], s[64:65]
	v_cmp_neq_f64_e64 vcc_lo, 0x7ff00000, |v[12:13]|
	v_cmp_ngt_f64_e64 s1, 0xc090cc00, v[12:13]
	v_add_f64 v[10:11], v[10:11], -v[37:38]
	v_rndne_f64_e32 v[35:36], v[35:36]
	v_cndmask_b32_e32 v11, 0, v11, vcc_lo
	v_cndmask_b32_e32 v10, 0, v10, vcc_lo
	v_cmp_nlt_f64_e32 vcc_lo, 0x40900000, v[12:13]
	v_fma_f64 v[37:38], v[35:36], s[86:87], v[12:13]
	v_cvt_i32_f64_e32 v2, v[35:36]
	s_and_b32 s10, s1, vcc_lo
	s_and_b32 s10, s10, exec_lo
	v_fma_f64 v[37:38], v[35:36], s[90:91], v[37:38]
	v_fma_f64 v[39:40], v[37:38], s[72:73], s[66:67]
	;; [unrolled: 1-line block ×10, first 2 shown]
	v_fma_f64 v[39:40], v[37:38], v[39:40], 1.0
	v_fma_f64 v[37:38], v[37:38], v[39:40], 1.0
	v_ldexp_f64 v[35:36], v[37:38], v2
	v_readfirstlane_b32 s7, v35
	v_cndmask_b32_e32 v2, 0x7ff00000, v36, vcc_lo
	s_cselect_b32 s7, s7, 0
	v_cndmask_b32_e64 v13, 0, v2, s1
	v_mov_b32_e32 v12, s7
	v_fma_f64 v[10:11], v[12:13], v[10:11], v[12:13]
	v_cmp_class_f64_e64 vcc_lo, v[12:13], 0x204
	v_readfirstlane_b32 s1, v10
	v_cndmask_b32_e32 v2, v11, v13, vcc_lo
	v_trunc_f64_e32 v[10:11], s[2:3]
	s_and_b32 s10, vcc_lo, exec_lo
	s_cselect_b32 s7, s7, s1
	v_cmp_eq_f64_e32 vcc_lo, s[2:3], v[10:11]
	v_mul_f64 v[10:11], s[2:3], 0.5
	v_cmp_gt_f64_e64 s2, 0, v[6:7]
	v_trunc_f64_e32 v[12:13], v[10:11]
	v_cmp_neq_f64_e64 s1, v[12:13], v[10:11]
	s_and_b32 s1, vcc_lo, s1
	s_and_b32 s3, vcc_lo, exec_lo
	v_cndmask_b32_e64 v3, 0x3ff00000, v7, s1
	s_cselect_b32 s3, s7, 0
	s_and_b32 s10, s2, exec_lo
	s_cselect_b32 s3, s3, s7
	s_mov_b32 s10, 0x252049c0
	v_bfi_b32 v2, 0x7fffffff, v2, v3
	s_mov_b32 s11, 0xb97b839a
	v_cndmask_b32_e32 v3, 0x7ff80000, v2, vcc_lo
	v_cmp_eq_f64_e32 vcc_lo, 0, v[6:7]
	v_cndmask_b32_e64 v2, v2, v3, s2
	v_cmp_class_f64_e64 s2, v[6:7], 0x204
	v_cndmask_b32_e64 v3, 0, v7, s1
	s_or_b32 s2, vcc_lo, s2
	s_and_b32 s7, vcc_lo, exec_lo
	v_cmp_o_f64_e32 vcc_lo, v[6:7], v[6:7]
	s_cselect_b32 s7, 0, 0x7ff00000
	s_and_b32 s1, s2, exec_lo
	v_bfi_b32 v3, 0x7fffffff, s7, v3
	s_cselect_b32 s1, 0, s3
	v_cndmask_b32_e64 v2, v2, v3, s2
	s_and_b32 s2, vcc_lo, exec_lo
	s_cselect_b32 s1, s1, 0
	v_cndmask_b32_e32 v7, 0x7ff80000, v2, vcc_lo
	v_mov_b32_e32 v6, s1
	v_fma_f64 v[0:1], v[6:7], v[0:1], 1.0
	v_add_f64 v[6:7], -s[8:9], 1.0
	v_cmp_eq_f64_e32 vcc_lo, 1.0, v[6:7]
	v_frexp_mant_f64_e64 v[10:11], |v[6:7]|
	v_frexp_exp_i32_f64_e32 v2, v[6:7]
	s_and_b32 s1, vcc_lo, exec_lo
	v_cmp_gt_f64_e32 vcc_lo, s[38:39], v[10:11]
	s_cselect_b32 s3, s6, 0x3fd55555
	s_cselect_b32 s2, 0, 0x55555555
	s_mov_b32 s1, s69
	v_writelane_b32 v127, s0, 4
	s_mov_b32 s6, s82
	v_writelane_b32 v127, s1, 5
	;; [unrolled: 2-line block ×3, first 2 shown]
	v_writelane_b32 v127, s1, 7
	v_cndmask_b32_e64 v3, 0, 1, vcc_lo
	v_subrev_co_ci_u32_e64 v2, null, 0, v2, vcc_lo
	v_writelane_b32 v127, s6, 8
	v_ldexp_f64 v[10:11], v[10:11], v3
	v_writelane_b32 v127, s7, 9
	v_add_f64 v[35:36], v[10:11], 1.0
	v_add_f64 v[12:13], v[10:11], -1.0
	v_add_f64 v[37:38], v[35:36], -1.0
	v_add_f64 v[10:11], v[10:11], -v[37:38]
	v_rcp_f64_e32 v[37:38], v[35:36]
	v_fma_f64 v[39:40], -v[35:36], v[37:38], 1.0
	v_fma_f64 v[37:38], v[39:40], v[37:38], v[37:38]
	v_fma_f64 v[39:40], -v[35:36], v[37:38], 1.0
	v_fma_f64 v[37:38], v[39:40], v[37:38], v[37:38]
	v_mul_f64 v[39:40], v[12:13], v[37:38]
	v_mul_f64 v[41:42], v[35:36], v[39:40]
	v_fma_f64 v[35:36], v[39:40], v[35:36], -v[41:42]
	v_fma_f64 v[10:11], v[39:40], v[10:11], v[35:36]
	v_add_f64 v[35:36], v[41:42], v[10:11]
	v_add_f64 v[43:44], v[12:13], -v[35:36]
	v_add_f64 v[41:42], v[35:36], -v[41:42]
	;; [unrolled: 1-line block ×4, first 2 shown]
	v_cvt_f64_i32_e32 v[41:42], v2
	v_add_f64 v[12:13], v[12:13], -v[35:36]
	v_add_f64 v[10:11], v[10:11], v[12:13]
	v_add_f64 v[10:11], v[43:44], v[10:11]
	v_mul_f64 v[43:44], v[41:42], s[58:59]
	v_mul_f64 v[10:11], v[37:38], v[10:11]
	v_fma_f64 v[48:49], v[41:42], s[58:59], -v[43:44]
	s_mov_b32 s59, 0x3feccccc
	v_add_f64 v[12:13], v[39:40], v[10:11]
	v_fma_f64 v[41:42], v[41:42], s[60:61], v[48:49]
	s_mov_b32 s60, 0x1e900000
	s_mov_b32 s61, 0x42d6bcc4
	v_add_f64 v[35:36], v[12:13], -v[39:40]
	v_add_f64 v[48:49], v[43:44], v[41:42]
	v_add_f64 v[10:11], v[10:11], -v[35:36]
	v_mul_f64 v[35:36], v[12:13], v[12:13]
	v_add_f64 v[43:44], v[48:49], -v[43:44]
	v_add_f64 v[39:40], v[10:11], v[10:11]
	v_fma_f64 v[37:38], v[12:13], v[12:13], -v[35:36]
	v_ldexp_f64 v[50:51], v[10:11], 1
	v_add_f64 v[41:42], v[41:42], -v[43:44]
	v_ldexp_f64 v[43:44], v[12:13], 1
	v_fma_f64 v[37:38], v[12:13], v[39:40], v[37:38]
	v_add_f64 v[39:40], v[35:36], v[37:38]
	v_add_f64 v[35:36], v[39:40], -v[35:36]
	v_mul_f64 v[52:53], v[12:13], v[39:40]
	v_add_f64 v[35:36], v[37:38], -v[35:36]
	v_fma_f64 v[37:38], v[39:40], s[42:43], s[40:41]
	v_fma_f64 v[54:55], v[39:40], v[12:13], -v[52:53]
	s_mov_b32 s40, 0xe2308c3a
	s_mov_b32 s41, 0x3e45798e
	v_fma_f64 v[37:38], v[39:40], v[37:38], s[44:45]
	v_fma_f64 v[10:11], v[39:40], v[10:11], v[54:55]
	s_mov_b32 s44, 0x9999999a
	s_mov_b32 s45, 0x3fc99999
	v_fma_f64 v[37:38], v[39:40], v[37:38], s[46:47]
	v_fma_f64 v[10:11], v[35:36], v[12:13], v[10:11]
	s_mov_b32 s47, 0x3ff33333
	v_fma_f64 v[37:38], v[39:40], v[37:38], s[48:49]
	v_add_f64 v[12:13], v[52:53], v[10:11]
	s_mov_b32 s49, 0xbfeccccc
	v_fma_f64 v[37:38], v[39:40], v[37:38], s[50:51]
	v_add_f64 v[52:53], v[12:13], -v[52:53]
	s_mov_b32 s50, 0xcccccccd
	s_mov_b32 s51, 0x3fcccccc
	v_fma_f64 v[37:38], v[39:40], v[37:38], s[52:53]
	v_add_f64 v[10:11], v[10:11], -v[52:53]
	s_mov_b32 s52, 0x33333333
	s_mov_b32 s53, 0x3fb33333
	v_fma_f64 v[37:38], v[39:40], v[37:38], s[54:55]
	s_mov_b32 s55, 0x3ff4bda1
	v_fma_f64 v[37:38], v[39:40], v[37:38], s[56:57]
	s_mov_b32 s56, 0x2f684bda
	s_mov_b32 s57, 0xc004bda1
	v_mul_f64 v[52:53], v[39:40], v[37:38]
	v_fma_f64 v[39:40], v[39:40], v[37:38], -v[52:53]
	v_fma_f64 v[35:36], v[35:36], v[37:38], v[39:40]
	v_add_f64 v[37:38], v[52:53], v[35:36]
	v_add_f64 v[39:40], v[37:38], -v[52:53]
	v_add_f64 v[35:36], v[35:36], -v[39:40]
	v_add_f64 v[39:40], v[37:38], s[38:39]
	v_add_f64 v[35:36], v[35:36], s[62:63]
	;; [unrolled: 1-line block ×3, first 2 shown]
	s_mov_b32 s63, 0x3fb99999
	v_add_f64 v[37:38], v[37:38], -v[52:53]
	v_add_f64 v[35:36], v[35:36], v[37:38]
	v_add_f64 v[37:38], v[39:40], v[35:36]
	v_add_f64 v[39:40], v[39:40], -v[37:38]
	v_add_f64 v[35:36], v[35:36], v[39:40]
	v_mul_f64 v[39:40], v[12:13], v[37:38]
	v_fma_f64 v[52:53], v[12:13], v[37:38], -v[39:40]
	v_fma_f64 v[12:13], v[12:13], v[35:36], v[52:53]
	v_mov_b32_e32 v52, 0
	v_mov_b32_e32 v53, 0x3fe00000
	v_fma_f64 v[10:11], v[10:11], v[37:38], v[12:13]
	v_add_f64 v[12:13], v[39:40], v[10:11]
	v_add_f64 v[35:36], v[12:13], -v[39:40]
	v_add_f64 v[10:11], v[10:11], -v[35:36]
	v_add_f64 v[35:36], v[43:44], v[12:13]
	v_add_f64 v[10:11], v[50:51], v[10:11]
	v_add_f64 v[37:38], v[35:36], -v[43:44]
	v_add_f64 v[12:13], v[12:13], -v[37:38]
	v_add_f64 v[10:11], v[10:11], v[12:13]
	;; [unrolled: 4-line block ×3, first 2 shown]
	v_add_f64 v[37:38], v[35:36], -v[48:49]
	v_add_f64 v[39:40], v[35:36], -v[37:38]
	v_add_f64 v[12:13], v[12:13], -v[37:38]
	v_add_f64 v[37:38], v[41:42], v[10:11]
	v_add_f64 v[39:40], v[48:49], -v[39:40]
	v_add_f64 v[12:13], v[12:13], v[39:40]
	v_add_f64 v[39:40], v[37:38], -v[41:42]
	;; [unrolled: 2-line block ×3, first 2 shown]
	v_add_f64 v[10:11], v[10:11], -v[39:40]
	v_add_f64 v[37:38], v[35:36], v[12:13]
	v_add_f64 v[41:42], v[41:42], -v[43:44]
	v_add_f64 v[35:36], v[37:38], -v[35:36]
	v_add_f64 v[10:11], v[10:11], v[41:42]
	v_add_f64 v[12:13], v[12:13], -v[35:36]
	v_add_f64 v[10:11], v[10:11], v[12:13]
	v_add_f64 v[12:13], v[37:38], v[10:11]
	v_add_f64 v[35:36], v[12:13], -v[37:38]
	v_add_f64 v[10:11], v[10:11], -v[35:36]
	v_mul_f64 v[35:36], s[2:3], v[12:13]
	v_fma_f64 v[12:13], s[2:3], v[12:13], -v[35:36]
	v_cmp_class_f64_e64 vcc_lo, v[35:36], 0x204
	v_fma_f64 v[10:11], s[2:3], v[10:11], v[12:13]
	v_add_f64 v[12:13], v[35:36], v[10:11]
	v_add_f64 v[37:38], v[12:13], -v[35:36]
	v_cndmask_b32_e32 v13, v13, v36, vcc_lo
	v_cndmask_b32_e32 v12, v12, v35, vcc_lo
	v_mul_f64 v[35:36], v[12:13], s[64:65]
	v_cmp_neq_f64_e64 vcc_lo, 0x7ff00000, |v[12:13]|
	v_cmp_ngt_f64_e64 s1, 0xc090cc00, v[12:13]
	s_mov_b32 s64, 0x84bda12f
	s_mov_b32 s65, 0xbfca12f6
	v_add_f64 v[10:11], v[10:11], -v[37:38]
	v_rndne_f64_e32 v[35:36], v[35:36]
	v_cndmask_b32_e32 v11, 0, v11, vcc_lo
	v_cndmask_b32_e32 v10, 0, v10, vcc_lo
	v_cmp_nlt_f64_e32 vcc_lo, 0x40900000, v[12:13]
	v_fma_f64 v[37:38], v[35:36], s[86:87], v[12:13]
	v_cvt_i32_f64_e32 v2, v[35:36]
	s_and_b32 s7, s1, vcc_lo
	s_and_b32 s7, s7, exec_lo
	v_fma_f64 v[37:38], v[35:36], s[90:91], v[37:38]
	s_mov_b32 s90, 0x92492492
	s_mov_b32 s91, 0xbf93c924
	v_fma_f64 v[39:40], v[37:38], s[72:73], s[66:67]
	s_mov_b32 s72, 0xed097b42
	s_mov_b32 s66, 0x2ed5a580
	;; [unrolled: 1-line block ×4, first 2 shown]
	v_fma_f64 v[39:40], v[37:38], v[39:40], s[74:75]
	s_mov_b32 s74, 0x12f684be
	s_mov_b32 s75, 0x3fa54bda
	v_fma_f64 v[39:40], v[37:38], v[39:40], s[76:77]
	s_mov_b32 s76, 0x5ed097b4
	s_mov_b32 s77, 0x3fd99f42
	;; [unrolled: 3-line block ×5, first 2 shown]
	v_fma_f64 v[39:40], v[37:38], v[39:40], s[84:85]
	v_fma_f64 v[39:40], v[37:38], v[39:40], s[70:71]
	;; [unrolled: 1-line block ×3, first 2 shown]
	s_mov_b32 s89, 0x3f93c924
	v_fma_f64 v[39:40], v[37:38], v[39:40], 1.0
	v_fma_f64 v[37:38], v[37:38], v[39:40], 1.0
	v_ldexp_f64 v[35:36], v[37:38], v2
	v_readfirstlane_b32 s6, v35
	v_cndmask_b32_e32 v2, 0x7ff00000, v36, vcc_lo
	s_cselect_b32 s6, s6, 0
	v_cndmask_b32_e64 v13, 0, v2, s1
	v_mov_b32_e32 v12, s6
	v_fma_f64 v[10:11], v[12:13], v[10:11], v[12:13]
	v_cmp_class_f64_e64 vcc_lo, v[12:13], 0x204
	v_readfirstlane_b32 s1, v10
	v_cndmask_b32_e32 v2, v11, v13, vcc_lo
	v_trunc_f64_e32 v[10:11], s[2:3]
	s_and_b32 s7, vcc_lo, exec_lo
	s_cselect_b32 s6, s6, s1
	v_cmp_eq_f64_e32 vcc_lo, s[2:3], v[10:11]
	v_mul_f64 v[10:11], s[2:3], 0.5
	v_cmp_gt_f64_e64 s2, 0, v[6:7]
	v_trunc_f64_e32 v[12:13], v[10:11]
	v_cmp_neq_f64_e64 s1, v[12:13], v[10:11]
	s_and_b32 s1, vcc_lo, s1
	s_and_b32 s3, vcc_lo, exec_lo
	v_cndmask_b32_e64 v3, 0x3ff00000, v7, s1
	s_cselect_b32 s3, s6, 0
	s_and_b32 s7, s2, exec_lo
	s_cselect_b32 s3, s3, s6
	v_bfi_b32 v2, 0x7fffffff, v2, v3
	v_cndmask_b32_e32 v3, 0x7ff80000, v2, vcc_lo
	v_cmp_eq_f64_e32 vcc_lo, 0, v[6:7]
	v_cndmask_b32_e64 v2, v2, v3, s2
	v_cmp_class_f64_e64 s2, v[6:7], 0x204
	v_cndmask_b32_e64 v3, 0, v7, s1
	s_or_b32 s2, vcc_lo, s2
	s_and_b32 s6, vcc_lo, exec_lo
	v_cmp_o_f64_e32 vcc_lo, v[6:7], v[6:7]
	s_cselect_b32 s6, 0, 0x7ff00000
	s_and_b32 s1, s2, exec_lo
	v_bfi_b32 v3, 0x7fffffff, s6, v3
	s_cselect_b32 s1, 0, s3
	s_mov_b32 s6, 0x6dc9c883
	s_mov_b32 s7, 0x3fe45f30
	v_cndmask_b32_e64 v2, v2, v3, s2
	s_and_b32 s2, vcc_lo, exec_lo
	s_cselect_b32 s1, s1, 0
	v_cndmask_b32_e32 v7, 0x7ff80000, v2, vcc_lo
	v_mov_b32_e32 v6, s1
	v_and_b32_e32 v2, 1, v26
	v_add_f64 v[0:1], v[6:7], v[0:1]
	v_mul_f64 v[6:7], 0x40080000, s[8:9]
	v_mul_f64 v[10:11], v[0:1], v[0:1]
	v_fma_f64 v[6:7], s[8:9], v[6:7], v[10:11]
	v_cmp_gt_f64_e32 vcc_lo, 0x10000000, v[6:7]
	s_and_b32 s1, vcc_lo, exec_lo
	s_cselect_b32 s1, 0x100, 0
	v_ldexp_f64 v[6:7], v[6:7], s1
	s_cselect_b32 s1, 0xffffff80, 0
	v_rsq_f64_e32 v[10:11], v[6:7]
	v_cmp_class_f64_e64 vcc_lo, v[6:7], 0x260
	v_mul_f64 v[12:13], v[6:7], v[10:11]
	v_mul_f64 v[10:11], v[10:11], 0.5
	v_fma_f64 v[35:36], -v[10:11], v[12:13], 0.5
	v_fma_f64 v[12:13], v[12:13], v[35:36], v[12:13]
	v_fma_f64 v[10:11], v[10:11], v[35:36], v[10:11]
	v_fma_f64 v[37:38], -v[12:13], v[12:13], v[6:7]
	v_fma_f64 v[12:13], v[37:38], v[10:11], v[12:13]
	v_fma_f64 v[35:36], -v[12:13], v[12:13], v[6:7]
	v_fma_f64 v[10:11], v[35:36], v[10:11], v[12:13]
	v_add_f64 v[12:13], 0x40080000, -v[0:1]
	v_add_f64 v[0:1], 0x40080000, v[0:1]
	v_ldexp_f64 v[10:11], v[10:11], s1
	v_cndmask_b32_e32 v7, v11, v7, vcc_lo
	v_cndmask_b32_e32 v6, v10, v6, vcc_lo
	v_fma_f64 v[0:1], v[6:7], 2.0, v[0:1]
	v_add_f64 v[10:11], 0x40080000, v[6:7]
	v_mul_f64 v[0:1], v[12:13], v[0:1]
	v_cmp_gt_f64_e32 vcc_lo, 0x10000000, v[0:1]
	s_and_b32 s1, vcc_lo, exec_lo
	s_cselect_b32 s1, 0x100, 0
	v_ldexp_f64 v[0:1], v[0:1], s1
	s_cselect_b32 s1, 0xffffff80, 0
	v_rsq_f64_e32 v[6:7], v[0:1]
	v_cmp_class_f64_e64 vcc_lo, v[0:1], 0x260
	v_mul_f64 v[12:13], v[0:1], v[6:7]
	v_mul_f64 v[6:7], v[6:7], 0.5
	v_fma_f64 v[35:36], -v[6:7], v[12:13], 0.5
	v_fma_f64 v[12:13], v[12:13], v[35:36], v[12:13]
	v_fma_f64 v[6:7], v[6:7], v[35:36], v[6:7]
	v_fma_f64 v[37:38], -v[12:13], v[12:13], v[0:1]
	v_fma_f64 v[12:13], v[37:38], v[6:7], v[12:13]
	v_fma_f64 v[35:36], -v[12:13], v[12:13], v[0:1]
	v_fma_f64 v[6:7], v[35:36], v[6:7], v[12:13]
	v_ldexp_f64 v[6:7], v[6:7], s1
	s_mov_b32 s1, s39
	v_cndmask_b32_e32 v1, v7, v1, vcc_lo
	v_cndmask_b32_e32 v0, v6, v0, vcc_lo
	v_cmp_eq_u32_e32 vcc_lo, 0, v2
	v_lshlrev_b32_e32 v2, 30, v26
	v_mov_b32_e32 v26, 0
	v_add_f64 v[0:1], v[10:11], -v[0:1]
	v_xor_b32_e32 v2, v2, v5
	v_mov_b32_e32 v5, v26
	v_and_b32_e32 v2, 0x80000000, v2
	v_cvt_f32_f64_e32 v0, v[0:1]
	v_cvt_f64_f32_e32 v[39:40], v0
	v_mul_f64 v[0:1], v[14:15], v[14:15]
	v_mul_f64 v[6:7], v[0:1], 0.5
	v_fma_f64 v[35:36], v[0:1], s[14:15], s[12:13]
	v_add_f64 v[10:11], -v[6:7], 1.0
	v_fma_f64 v[35:36], v[0:1], v[35:36], s[18:19]
	v_add_f64 v[12:13], -v[10:11], 1.0
	v_fma_f64 v[35:36], v[0:1], v[35:36], s[20:21]
	v_add_f64 v[6:7], v[12:13], -v[6:7]
	v_fma_f64 v[35:36], v[0:1], v[35:36], s[22:23]
	v_mul_f64 v[12:13], v[0:1], v[0:1]
	v_fma_f64 v[6:7], v[14:15], -v[16:17], v[6:7]
	v_fma_f64 v[35:36], v[0:1], v[35:36], s[24:25]
	v_fma_f64 v[6:7], v[12:13], v[35:36], v[6:7]
	v_mul_f64 v[12:13], v[14:15], -v[0:1]
	v_mul_f64 v[35:36], v[16:17], 0.5
	v_add_f64 v[6:7], v[10:11], v[6:7]
	v_fma_f64 v[10:11], v[0:1], s[28:29], s[26:27]
	v_fma_f64 v[10:11], v[0:1], v[10:11], s[30:31]
	;; [unrolled: 1-line block ×5, first 2 shown]
	v_fma_f64 v[0:1], v[0:1], v[10:11], -v[16:17]
	v_fma_f64 v[0:1], v[12:13], s[4:5], v[0:1]
	v_add_f64 v[0:1], v[14:15], -v[0:1]
	v_cndmask_b32_e32 v1, v7, v1, vcc_lo
	v_cndmask_b32_e32 v0, v6, v0, vcc_lo
	v_mul_f64 v[6:7], v[24:25], v[33:34]
	v_xor_b32_e32 v1, v1, v2
	v_cndmask_b32_e64 v0, 0, v0, s0
	v_cndmask_b32_e64 v1, 0x7ff80000, v1, s0
	v_mul_f64 v[35:36], v[0:1], v[0:1]
	v_fma_f64 v[0:1], v[69:70], -2.0, v[22:23]
	v_add_f64 v[10:11], v[8:9], v[0:1]
	v_fma_f64 v[0:1], v[69:70], -2.0, v[24:25]
	v_div_scale_f64 v[12:13], null, v[10:11], v[10:11], v[6:7]
	v_rcp_f64_e32 v[14:15], v[12:13]
	v_fma_f64 v[16:17], -v[12:13], v[14:15], 1.0
	v_fma_f64 v[14:15], v[14:15], v[16:17], v[14:15]
	v_fma_f64 v[16:17], -v[12:13], v[14:15], 1.0
	v_fma_f64 v[14:15], v[14:15], v[16:17], v[14:15]
	v_div_scale_f64 v[16:17], vcc_lo, v[6:7], v[10:11], v[6:7]
	v_mul_f64 v[22:23], v[16:17], v[14:15]
	v_fma_f64 v[12:13], -v[12:13], v[22:23], v[16:17]
	v_div_fmas_f64 v[12:13], v[12:13], v[14:15], v[22:23]
	v_div_fixup_f64 v[14:15], v[12:13], v[10:11], v[6:7]
	v_mul_f64 v[6:7], v[33:34], v[33:34]
	v_mul_f64 v[12:13], v[24:25], v[31:32]
	v_div_scale_f64 v[16:17], null, v[10:11], v[10:11], v[6:7]
	v_rcp_f64_e32 v[22:23], v[16:17]
	v_fma_f64 v[33:34], -v[16:17], v[22:23], 1.0
	v_fma_f64 v[22:23], v[22:23], v[33:34], v[22:23]
	v_fma_f64 v[33:34], -v[16:17], v[22:23], 1.0
	v_fma_f64 v[22:23], v[22:23], v[33:34], v[22:23]
	v_div_scale_f64 v[33:34], vcc_lo, v[6:7], v[10:11], v[6:7]
	v_mul_f64 v[37:38], v[33:34], v[22:23]
	v_fma_f64 v[16:17], -v[16:17], v[37:38], v[33:34]
	v_div_fmas_f64 v[16:17], v[16:17], v[22:23], v[37:38]
	v_div_fixup_f64 v[6:7], v[16:17], v[10:11], v[6:7]
	v_mul_f64 v[16:17], v[10:11], v[35:36]
	v_mul_f64 v[10:11], v[10:11], v[24:25]
	v_fma_f64 v[6:7], v[31:32], v[31:32], v[6:7]
	v_mul_f64 v[16:17], v[20:21], v[16:17]
	v_mul_f64 v[16:17], v[20:21], v[16:17]
	v_fma_f64 v[6:7], v[0:1], v[6:7], v[16:17]
	v_cmp_gt_f64_e32 vcc_lo, 0x10000000, v[6:7]
	v_cndmask_b32_e64 v2, 0, 0x100, vcc_lo
	v_ldexp_f64 v[6:7], v[6:7], v2
	v_cndmask_b32_e64 v2, 0, 0xffffff80, vcc_lo
	v_rsq_f64_e32 v[16:17], v[6:7]
	v_cmp_class_f64_e64 vcc_lo, v[6:7], 0x260
	v_mul_f64 v[22:23], v[6:7], v[16:17]
	v_mul_f64 v[16:17], v[16:17], 0.5
	v_fma_f64 v[31:32], -v[16:17], v[22:23], 0.5
	v_fma_f64 v[22:23], v[22:23], v[31:32], v[22:23]
	v_fma_f64 v[16:17], v[16:17], v[31:32], v[16:17]
	v_fma_f64 v[33:34], -v[22:23], v[22:23], v[6:7]
	v_fma_f64 v[22:23], v[33:34], v[16:17], v[22:23]
	v_fma_f64 v[31:32], -v[22:23], v[22:23], v[6:7]
	v_fma_f64 v[16:17], v[31:32], v[16:17], v[22:23]
	v_ldexp_f64 v[16:17], v[16:17], v2
	s_clause 0x1
	buffer_load_dword v2, off, s[100:103], 0 offset:184
	buffer_load_dword v3, off, s[100:103], 0 offset:188
	v_cndmask_b32_e32 v7, v17, v7, vcc_lo
	v_cndmask_b32_e32 v6, v16, v6, vcc_lo
	v_div_scale_f64 v[16:17], null, v[6:7], v[6:7], v[14:15]
	v_rcp_f64_e32 v[22:23], v[16:17]
	v_fma_f64 v[31:32], -v[16:17], v[22:23], 1.0
	v_fma_f64 v[22:23], v[22:23], v[31:32], v[22:23]
	v_fma_f64 v[31:32], -v[16:17], v[22:23], 1.0
	v_fma_f64 v[22:23], v[22:23], v[31:32], v[22:23]
	v_div_scale_f64 v[31:32], vcc_lo, v[14:15], v[6:7], v[14:15]
	v_mul_f64 v[33:34], v[31:32], v[22:23]
	v_fma_f64 v[16:17], -v[16:17], v[33:34], v[31:32]
	v_div_fmas_f64 v[16:17], v[16:17], v[22:23], v[33:34]
	v_div_fixup_f64 v[65:66], v[16:17], v[6:7], v[14:15]
	v_div_scale_f64 v[16:17], null, v[6:7], v[6:7], v[12:13]
	v_rcp_f64_e32 v[22:23], v[16:17]
	v_fma_f64 v[31:32], -v[16:17], v[22:23], 1.0
	v_fma_f64 v[22:23], v[22:23], v[31:32], v[22:23]
	v_fma_f64 v[31:32], -v[16:17], v[22:23], 1.0
	v_fma_f64 v[22:23], v[22:23], v[31:32], v[22:23]
	v_div_scale_f64 v[31:32], vcc_lo, v[12:13], v[6:7], v[12:13]
	v_mul_f64 v[33:34], v[31:32], v[22:23]
	v_fma_f64 v[16:17], -v[16:17], v[33:34], v[31:32]
	v_div_fmas_f64 v[16:17], v[16:17], v[22:23], v[33:34]
	v_div_fixup_f64 v[116:117], v[16:17], v[6:7], v[12:13]
	s_waitcnt vmcnt(0)
	v_mul_f64 v[12:13], v[2:3], v[69:70]
	v_mul_f64 v[12:13], v[12:13], v[6:7]
	v_fma_f64 v[10:11], v[10:11], v[20:21], -v[12:13]
	v_mul_f64 v[10:11], v[35:36], v[10:11]
	v_div_scale_f64 v[12:13], null, v[0:1], v[0:1], v[10:11]
	v_rcp_f64_e32 v[20:21], v[12:13]
	v_fma_f64 v[22:23], -v[12:13], v[20:21], 1.0
	v_fma_f64 v[20:21], v[20:21], v[22:23], v[20:21]
	v_fma_f64 v[22:23], -v[12:13], v[20:21], 1.0
	v_fma_f64 v[20:21], v[20:21], v[22:23], v[20:21]
	v_div_scale_f64 v[22:23], vcc_lo, v[10:11], v[0:1], v[10:11]
	v_mul_f64 v[24:25], v[22:23], v[20:21]
	v_fma_f64 v[12:13], -v[12:13], v[24:25], v[22:23]
	v_div_fmas_f64 v[12:13], v[12:13], v[20:21], v[24:25]
	v_div_fixup_f64 v[0:1], v[12:13], v[0:1], v[10:11]
	v_div_scale_f64 v[10:11], null, v[6:7], v[6:7], v[0:1]
	v_rcp_f64_e32 v[12:13], v[10:11]
	v_fma_f64 v[20:21], -v[10:11], v[12:13], 1.0
	v_fma_f64 v[12:13], v[12:13], v[20:21], v[12:13]
	v_fma_f64 v[20:21], -v[10:11], v[12:13], 1.0
	v_fma_f64 v[12:13], v[12:13], v[20:21], v[12:13]
	v_div_scale_f64 v[20:21], vcc_lo, v[0:1], v[6:7], v[0:1]
	v_mul_f64 v[22:23], v[20:21], v[12:13]
	v_fma_f64 v[10:11], -v[10:11], v[22:23], v[20:21]
	v_div_fmas_f64 v[10:11], v[10:11], v[12:13], v[22:23]
	v_div_fixup_f64 v[14:15], v[10:11], v[6:7], v[0:1]
	v_mul_f64 v[0:1], v[116:117], v[116:117]
	v_mul_f64 v[121:122], v[14:15], v[14:15]
	v_fma_f64 v[0:1], v[8:9], v[35:36], v[0:1]
	v_div_scale_f64 v[6:7], null, v[35:36], v[35:36], v[121:122]
	v_rcp_f64_e32 v[10:11], v[6:7]
	v_fma_f64 v[12:13], -v[6:7], v[10:11], 1.0
	v_fma_f64 v[10:11], v[10:11], v[12:13], v[10:11]
	v_fma_f64 v[12:13], -v[6:7], v[10:11], 1.0
	v_fma_f64 v[10:11], v[10:11], v[12:13], v[10:11]
	v_div_scale_f64 v[12:13], vcc_lo, v[121:122], v[35:36], v[121:122]
	v_mul_f64 v[24:25], v[12:13], v[10:11]
	v_fma_f64 v[6:7], -v[6:7], v[24:25], v[12:13]
	v_div_fmas_f64 v[6:7], v[6:7], v[10:11], v[24:25]
	v_div_fixup_f64 v[6:7], v[6:7], v[35:36], v[121:122]
	v_add_f64 v[0:1], v[0:1], v[6:7]
	buffer_store_dword v0, off, s[100:103], 0 offset:8 ; 4-byte Folded Spill
	buffer_store_dword v1, off, s[100:103], 0 offset:12 ; 4-byte Folded Spill
	v_lshl_add_u32 v0, v19, 10, v18
	v_lshl_add_u32 v4, v0, 1, v0
	v_lshlrev_b64 v[0:1], 3, v[4:5]
	v_add_co_u32 v0, vcc_lo, s16, v0
	v_add_co_ci_u32_e64 v1, null, s17, v1, vcc_lo
	global_store_dwordx2 v[0:1], v[29:30], off
	v_mov_b32_e32 v0, v4
	buffer_store_dword v0, off, s[100:103], 0 offset:232 ; 4-byte Folded Spill
	buffer_store_dword v1, off, s[100:103], 0 offset:236 ; 4-byte Folded Spill
	v_add_nc_u32_e32 v0, 1, v4
	v_mov_b32_e32 v1, v26
	v_lshlrev_b64 v[0:1], 3, v[0:1]
	v_add_co_u32 v0, vcc_lo, s16, v0
	v_writelane_b32 v127, s16, 10
	v_add_co_ci_u32_e64 v1, null, s17, v1, vcc_lo
	v_cmp_gt_f64_e32 vcc_lo, 0x10000000, v[39:40]
	v_writelane_b32 v127, s17, 11
	global_store_dwordx2 v[0:1], v[27:28], off
	buffer_store_dword v14, off, s[100:103], 0 offset:32 ; 4-byte Folded Spill
	buffer_store_dword v15, off, s[100:103], 0 offset:36 ; 4-byte Folded Spill
	s_mov_b32 s16, 0x33145c00
	s_mov_b32 s17, 0xbc91a626
	s_and_b32 s0, vcc_lo, exec_lo
	s_cselect_b32 s0, 0x100, 0
	v_ldexp_f64 v[6:7], v[39:40], s0
	s_cselect_b32 s0, 0xffffff80, 0
	v_rsq_f64_e32 v[10:11], v[6:7]
	v_cmp_class_f64_e64 vcc_lo, v[6:7], 0x260
	v_mul_f64 v[12:13], v[6:7], v[10:11]
	v_mul_f64 v[10:11], v[10:11], 0.5
	v_fma_f64 v[18:19], -v[10:11], v[12:13], 0.5
	v_fma_f64 v[12:13], v[12:13], v[18:19], v[12:13]
	v_fma_f64 v[10:11], v[10:11], v[18:19], v[10:11]
	v_fma_f64 v[30:31], -v[12:13], v[12:13], v[6:7]
	v_fma_f64 v[12:13], v[30:31], v[10:11], v[12:13]
	v_fma_f64 v[18:19], -v[12:13], v[12:13], v[6:7]
	v_fma_f64 v[10:11], v[18:19], v[10:11], v[12:13]
	v_ldexp_f64 v[10:11], v[10:11], s0
	v_cndmask_b32_e32 v7, v11, v7, vcc_lo
	v_cndmask_b32_e32 v6, v10, v6, vcc_lo
	v_mul_f64 v[0:1], v[2:3], v[14:15]
	buffer_store_dword v0, off, s[100:103], 0 offset:16 ; 4-byte Folded Spill
	buffer_store_dword v1, off, s[100:103], 0 offset:20 ; 4-byte Folded Spill
	v_mul_f64 v[0:1], v[39:40], v[39:40]
	v_fma_f64 v[10:11], -v[2:3], v[6:7], v[0:1]
	v_mul_f64 v[0:1], v[0:1], v[39:40]
	v_add_f64 v[10:11], v[8:9], v[10:11]
	v_cmp_gt_f64_e32 vcc_lo, 0x10000000, v[0:1]
	s_and_b32 s0, vcc_lo, exec_lo
	s_cselect_b32 s0, 0x100, 0
	v_ldexp_f64 v[0:1], v[0:1], s0
	s_cselect_b32 s0, 0xffffff80, 0
	v_rsq_f64_e32 v[12:13], v[0:1]
	v_cmp_class_f64_e64 vcc_lo, v[0:1], 0x260
	v_mul_f64 v[18:19], v[0:1], v[12:13]
	v_mul_f64 v[12:13], v[12:13], 0.5
	v_fma_f64 v[30:31], -v[12:13], v[18:19], 0.5
	v_fma_f64 v[18:19], v[18:19], v[30:31], v[18:19]
	v_fma_f64 v[12:13], v[12:13], v[30:31], v[12:13]
	v_fma_f64 v[32:33], -v[18:19], v[18:19], v[0:1]
	v_fma_f64 v[18:19], v[32:33], v[12:13], v[18:19]
	v_fma_f64 v[30:31], -v[18:19], v[18:19], v[0:1]
	v_fma_f64 v[12:13], v[30:31], v[12:13], v[18:19]
	v_ldexp_f64 v[12:13], v[12:13], s0
	v_writelane_b32 v127, s0, 12
	v_writelane_b32 v127, s1, 13
	v_cndmask_b32_e32 v1, v13, v1, vcc_lo
	v_cndmask_b32_e32 v0, v12, v0, vcc_lo
	v_fma_f64 v[0:1], v[6:7], -2.0, v[0:1]
	v_add_f64 v[0:1], s[8:9], v[0:1]
	v_div_scale_f64 v[6:7], null, v[0:1], v[0:1], v[10:11]
	v_rcp_f64_e32 v[12:13], v[6:7]
	v_fma_f64 v[18:19], -v[6:7], v[12:13], 1.0
	v_fma_f64 v[12:13], v[12:13], v[18:19], v[12:13]
	v_fma_f64 v[18:19], -v[6:7], v[12:13], 1.0
	v_fma_f64 v[12:13], v[12:13], v[18:19], v[12:13]
	v_div_scale_f64 v[18:19], vcc_lo, v[10:11], v[0:1], v[10:11]
	v_mul_f64 v[30:31], v[18:19], v[12:13]
	v_fma_f64 v[6:7], -v[6:7], v[30:31], v[18:19]
	v_div_fmas_f64 v[6:7], v[6:7], v[12:13], v[30:31]
	v_div_fixup_f64 v[0:1], v[6:7], v[0:1], v[10:11]
	buffer_store_dword v0, off, s[100:103], 0 offset:200 ; 4-byte Folded Spill
	buffer_store_dword v1, off, s[100:103], 0 offset:204 ; 4-byte Folded Spill
	v_div_scale_f64 v[0:1], null, v[39:40], v[39:40], s[38:39]
	v_rcp_f64_e32 v[6:7], v[0:1]
	v_fma_f64 v[10:11], -v[0:1], v[6:7], 1.0
	v_fma_f64 v[6:7], v[6:7], v[10:11], v[6:7]
	v_fma_f64 v[10:11], -v[0:1], v[6:7], 1.0
	v_fma_f64 v[6:7], v[6:7], v[10:11], v[6:7]
	v_div_scale_f64 v[10:11], vcc_lo, s[38:39], v[39:40], s[38:39]
	buffer_store_dword v39, off, s[100:103], 0 offset:192 ; 4-byte Folded Spill
	buffer_store_dword v40, off, s[100:103], 0 offset:196 ; 4-byte Folded Spill
	v_mul_f64 v[12:13], v[10:11], v[6:7]
	v_fma_f64 v[0:1], -v[0:1], v[12:13], v[10:11]
	v_div_fmas_f64 v[0:1], v[0:1], v[6:7], v[12:13]
	v_div_fixup_f64 v[0:1], v[0:1], v[39:40], s[38:39]
	v_add_f64 v[6:7], -v[0:1], 1.0
	v_cmp_gt_f64_e32 vcc_lo, 0x10000000, v[6:7]
	s_and_b32 s0, vcc_lo, exec_lo
	s_cselect_b32 s0, 0x100, 0
	v_ldexp_f64 v[6:7], v[6:7], s0
	s_cselect_b32 s0, 0xffffff80, 0
	v_rsq_f64_e32 v[10:11], v[6:7]
	v_cmp_class_f64_e64 vcc_lo, v[6:7], 0x260
	v_mul_f64 v[12:13], v[6:7], v[10:11]
	v_mul_f64 v[10:11], v[10:11], 0.5
	v_fma_f64 v[18:19], -v[10:11], v[12:13], 0.5
	v_fma_f64 v[12:13], v[12:13], v[18:19], v[12:13]
	v_fma_f64 v[10:11], v[10:11], v[18:19], v[10:11]
	v_fma_f64 v[30:31], -v[12:13], v[12:13], v[6:7]
	v_fma_f64 v[12:13], v[30:31], v[10:11], v[12:13]
	v_fma_f64 v[18:19], -v[12:13], v[12:13], v[6:7]
	v_fma_f64 v[10:11], v[18:19], v[10:11], v[12:13]
	v_ldexp_f64 v[10:11], v[10:11], s0
	v_cndmask_b32_e32 v3, v11, v7, vcc_lo
	v_cndmask_b32_e32 v2, v10, v6, vcc_lo
	v_cmp_gt_f64_e32 vcc_lo, 0x10000000, v[0:1]
	buffer_store_dword v2, off, s[100:103], 0 offset:208 ; 4-byte Folded Spill
	buffer_store_dword v3, off, s[100:103], 0 offset:212 ; 4-byte Folded Spill
	s_and_b32 s0, vcc_lo, exec_lo
	s_cselect_b32 s0, 0x100, 0
	v_ldexp_f64 v[0:1], v[0:1], s0
	s_cselect_b32 s0, 0xffffff80, 0
	v_rsq_f64_e32 v[6:7], v[0:1]
	v_cmp_class_f64_e64 vcc_lo, v[0:1], 0x260
	v_mul_f64 v[10:11], v[0:1], v[6:7]
	v_mul_f64 v[6:7], v[6:7], 0.5
	v_fma_f64 v[12:13], -v[6:7], v[10:11], 0.5
	v_fma_f64 v[10:11], v[10:11], v[12:13], v[10:11]
	v_fma_f64 v[6:7], v[6:7], v[12:13], v[6:7]
	v_fma_f64 v[18:19], -v[10:11], v[10:11], v[0:1]
	v_fma_f64 v[10:11], v[18:19], v[6:7], v[10:11]
	v_fma_f64 v[12:13], -v[10:11], v[10:11], v[0:1]
	v_fma_f64 v[6:7], v[12:13], v[6:7], v[10:11]
	v_ldexp_f64 v[6:7], v[6:7], s0
	s_mov_b32 s0, 0x9b27acf1
	v_writelane_b32 v127, s0, 14
	v_writelane_b32 v127, s1, 15
	s_mov_b32 s0, 0x998ef7b6
	v_writelane_b32 v127, s0, 16
	v_writelane_b32 v127, s1, 17
	s_mov_b32 s0, 0x55555780
	v_cndmask_b32_e32 v1, v7, v1, vcc_lo
	v_writelane_b32 v127, s0, 18
	v_cndmask_b32_e32 v0, v6, v0, vcc_lo
	buffer_store_dword v0, off, s[100:103], 0 offset:216 ; 4-byte Folded Spill
	buffer_store_dword v1, off, s[100:103], 0 offset:220 ; 4-byte Folded Spill
	v_writelane_b32 v127, s1, 19
	s_mov_b32 s1, 0x402921fb
	v_mov_b32_e32 v0, 0x238f6764
	v_mov_b32_e32 v1, 0x3ef18354
	buffer_store_dword v0, off, s[100:103], 0 offset:224 ; 4-byte Folded Spill
	buffer_store_dword v1, off, s[100:103], 0 offset:228 ; 4-byte Folded Spill
	v_writelane_b32 v127, s0, 20
	v_mov_b32_e32 v0, 0
	v_mov_b32_e32 v1, 0
	buffer_store_dword v0, off, s[100:103], 0 offset:176 ; 4-byte Folded Spill
	buffer_store_dword v1, off, s[100:103], 0 offset:180 ; 4-byte Folded Spill
	v_writelane_b32 v127, s1, 21
	s_mov_b32 s1, 0xbff71547
	v_mov_b32_e32 v0, 0
	v_mov_b32_e32 v1, 0
	buffer_store_dword v0, off, s[100:103], 0 offset:152 ; 4-byte Folded Spill
	buffer_store_dword v1, off, s[100:103], 0 offset:156 ; 4-byte Folded Spill
	v_writelane_b32 v127, s0, 22
	v_writelane_b32 v127, s1, 23
	s_branch .LBB1_79
.LBB1_77:                               ;   in Loop: Header=BB1_79 Depth=1
	s_or_b32 exec_lo, exec_lo, s4
	v_mov_b32_e32 v22, 0x3ff00000
	v_cndmask_b32_e64 v6, 0x9999999a, 0, s2
	v_mul_f64 v[28:29], v[58:59], 0.5
	s_mov_b32 s4, s24
	s_mov_b32 s42, 0x3b39803f
	v_cndmask_b32_e64 v7, 0xbff19999, v22, s2
	s_mov_b32 s43, 0x3c7abc9e
	s_mov_b32 s43, s85
	;; [unrolled: 1-line block ×4, first 2 shown]
	v_mul_f64 v[2:3], v[6:7], v[10:11]
	v_cmp_gt_f64_e32 vcc_lo, 0, v[6:7]
	s_mov_b32 s87, 0x3f56c16c
	s_mov_b32 s68, 0x55555511
	;; [unrolled: 1-line block ×3, first 2 shown]
	v_fma_f64 v[4:5], v[6:7], v[10:11], -v[2:3]
	s_xor_b32 s0, s3, vcc_lo
	v_cmp_class_f64_e64 vcc_lo, v[2:3], 0x204
	v_cndmask_b32_e64 v27, 0x7ff00000, 0, s0
	s_mov_b32 s0, 0x652b82fe
	s_mov_b32 s1, 0x3ff71547
	;; [unrolled: 1-line block ×4, first 2 shown]
	v_fma_f64 v[4:5], v[6:7], v[18:19], v[4:5]
	v_add_f64 v[10:11], v[2:3], v[4:5]
	v_cndmask_b32_e32 v19, v11, v3, vcc_lo
	v_cndmask_b32_e32 v18, v10, v2, vcc_lo
	v_add_f64 v[2:3], v[10:11], -v[2:3]
	v_cmp_neq_f64_e64 vcc_lo, 0x7ff00000, |v[18:19]|
	v_add_f64 v[2:3], v[4:5], -v[2:3]
	v_cndmask_b32_e32 v11, 0, v3, vcc_lo
	v_cndmask_b32_e32 v10, 0, v2, vcc_lo
	v_mul_f64 v[2:3], v[56:57], v[56:57]
	v_fma_f64 v[4:5], v[2:3], s[28:29], s[26:27]
	v_fma_f64 v[14:15], v[2:3], s[14:15], s[12:13]
	v_mul_f64 v[16:17], v[2:3], 0.5
	v_mul_f64 v[34:35], v[56:57], -v[2:3]
	v_fma_f64 v[4:5], v[2:3], v[4:5], s[30:31]
	v_fma_f64 v[14:15], v[2:3], v[14:15], s[18:19]
	v_add_f64 v[24:25], -v[16:17], 1.0
	v_fma_f64 v[4:5], v[2:3], v[4:5], s[34:35]
	v_fma_f64 v[14:15], v[2:3], v[14:15], s[20:21]
	v_add_f64 v[36:37], -v[24:25], 1.0
	v_fma_f64 v[4:5], v[2:3], v[4:5], s[36:37]
	v_fma_f64 v[14:15], v[2:3], v[14:15], s[22:23]
	v_add_f64 v[16:17], v[36:37], -v[16:17]
	v_fma_f64 v[4:5], v[34:35], v[4:5], v[28:29]
	v_mul_f64 v[28:29], v[2:3], v[2:3]
	v_fma_f64 v[14:15], v[2:3], v[14:15], s[24:25]
	v_fma_f64 v[16:17], v[56:57], -v[58:59], v[16:17]
	v_fma_f64 v[2:3], v[2:3], v[4:5], -v[58:59]
	v_fma_f64 v[4:5], v[28:29], v[14:15], v[16:17]
	v_and_b32_e32 v14, 1, v30
	v_mul_f64 v[28:29], v[12:13], 0.5
	v_cmp_eq_u32_e32 vcc_lo, 0, v14
	v_fma_f64 v[2:3], v[34:35], s[4:5], v[2:3]
	v_add_f64 v[4:5], v[24:25], v[4:5]
	v_add_f64 v[2:3], v[56:57], -v[2:3]
	v_cndmask_b32_e32 v34, v4, v2, vcc_lo
	v_cndmask_b32_e32 v35, v5, v3, vcc_lo
	v_mul_f64 v[2:3], v[0:1], v[0:1]
	v_fma_f64 v[4:5], v[2:3], s[28:29], s[26:27]
	v_fma_f64 v[14:15], v[2:3], s[14:15], s[12:13]
	v_mul_f64 v[16:17], v[2:3], 0.5
	v_mul_f64 v[36:37], v[0:1], -v[2:3]
	v_fma_f64 v[4:5], v[2:3], v[4:5], s[30:31]
	v_fma_f64 v[14:15], v[2:3], v[14:15], s[18:19]
	v_add_f64 v[24:25], -v[16:17], 1.0
	v_fma_f64 v[4:5], v[2:3], v[4:5], s[34:35]
	v_fma_f64 v[14:15], v[2:3], v[14:15], s[20:21]
	v_add_f64 v[38:39], -v[24:25], 1.0
	v_fma_f64 v[4:5], v[2:3], v[4:5], s[36:37]
	v_fma_f64 v[14:15], v[2:3], v[14:15], s[22:23]
	v_add_f64 v[16:17], v[38:39], -v[16:17]
	v_fma_f64 v[4:5], v[36:37], v[4:5], v[28:29]
	v_mul_f64 v[28:29], v[2:3], v[2:3]
	v_fma_f64 v[14:15], v[2:3], v[14:15], s[24:25]
	v_fma_f64 v[16:17], v[0:1], -v[12:13], v[16:17]
	v_fma_f64 v[2:3], v[2:3], v[4:5], -v[12:13]
	v_fma_f64 v[4:5], v[28:29], v[14:15], v[16:17]
	v_mul_f64 v[28:29], v[78:79], 0.5
	v_fma_f64 v[2:3], v[36:37], s[4:5], v[2:3]
	v_add_f64 v[4:5], v[24:25], v[4:5]
	v_add_f64 v[0:1], v[0:1], -v[2:3]
	v_and_b32_e32 v2, 1, v33
	v_cmp_eq_u32_e32 vcc_lo, 0, v2
	v_mul_f64 v[2:3], v[76:77], v[76:77]
	v_cndmask_b32_e32 v12, v4, v0, vcc_lo
	v_cndmask_b32_e32 v1, v5, v1, vcc_lo
	v_and_b32_e32 v0, 1, v32
	v_fma_f64 v[4:5], v[2:3], s[28:29], s[26:27]
	v_fma_f64 v[13:14], v[2:3], s[14:15], s[12:13]
	v_mul_f64 v[15:16], v[2:3], 0.5
	v_mul_f64 v[36:37], v[76:77], -v[2:3]
	v_cmp_eq_u32_e32 vcc_lo, 0, v0
	v_fma_f64 v[4:5], v[2:3], v[4:5], s[30:31]
	v_fma_f64 v[13:14], v[2:3], v[13:14], s[18:19]
	v_add_f64 v[24:25], -v[15:16], 1.0
	v_fma_f64 v[4:5], v[2:3], v[4:5], s[34:35]
	v_fma_f64 v[13:14], v[2:3], v[13:14], s[20:21]
	v_add_f64 v[38:39], -v[24:25], 1.0
	v_fma_f64 v[4:5], v[2:3], v[4:5], s[36:37]
	v_fma_f64 v[13:14], v[2:3], v[13:14], s[22:23]
	v_add_f64 v[15:16], v[38:39], -v[15:16]
	v_fma_f64 v[4:5], v[36:37], v[4:5], v[28:29]
	v_mul_f64 v[28:29], v[2:3], v[2:3]
	v_fma_f64 v[4:5], v[2:3], v[4:5], -v[78:79]
	v_fma_f64 v[2:3], v[2:3], v[13:14], s[24:25]
	v_fma_f64 v[13:14], v[76:77], -v[78:79], v[15:16]
	v_fma_f64 v[4:5], v[36:37], s[4:5], v[4:5]
	v_fma_f64 v[2:3], v[28:29], v[2:3], v[13:14]
	v_mul_f64 v[28:29], v[62:63], 0.5
	v_add_f64 v[4:5], v[76:77], -v[4:5]
	v_add_f64 v[2:3], v[24:25], v[2:3]
	v_xor_b32_e32 v5, 0x80000000, v5
	v_cndmask_b32_e32 v0, v4, v2, vcc_lo
	v_cndmask_b32_e32 v13, v5, v3, vcc_lo
	v_mul_f64 v[2:3], v[60:61], v[60:61]
	v_fma_f64 v[4:5], v[2:3], s[28:29], s[26:27]
	v_fma_f64 v[14:15], v[2:3], s[14:15], s[12:13]
	v_mul_f64 v[16:17], v[2:3], 0.5
	v_mul_f64 v[36:37], v[60:61], -v[2:3]
	v_fma_f64 v[4:5], v[2:3], v[4:5], s[30:31]
	v_fma_f64 v[14:15], v[2:3], v[14:15], s[18:19]
	v_add_f64 v[24:25], -v[16:17], 1.0
	v_fma_f64 v[4:5], v[2:3], v[4:5], s[34:35]
	v_fma_f64 v[14:15], v[2:3], v[14:15], s[20:21]
	v_add_f64 v[38:39], -v[24:25], 1.0
	v_fma_f64 v[4:5], v[2:3], v[4:5], s[36:37]
	v_fma_f64 v[14:15], v[2:3], v[14:15], s[22:23]
	v_add_f64 v[16:17], v[38:39], -v[16:17]
	v_fma_f64 v[4:5], v[36:37], v[4:5], v[28:29]
	v_mul_f64 v[28:29], v[2:3], v[2:3]
	v_fma_f64 v[4:5], v[2:3], v[4:5], -v[62:63]
	v_fma_f64 v[2:3], v[2:3], v[14:15], s[24:25]
	v_fma_f64 v[14:15], v[60:61], -v[62:63], v[16:17]
	s_clause 0x1
	buffer_load_dword v16, off, s[100:103], 0
	buffer_load_dword v17, off, s[100:103], 0 offset:4
	v_fma_f64 v[4:5], v[36:37], s[4:5], v[4:5]
	v_fma_f64 v[2:3], v[28:29], v[2:3], v[14:15]
	v_and_b32_e32 v14, 1, v31
	v_lshlrev_b32_e32 v15, 30, v31
	v_mov_b32_e32 v28, v40
	v_mov_b32_e32 v29, v41
	v_cmp_eq_u32_e32 vcc_lo, 0, v14
	v_lshlrev_b32_e32 v14, 30, v32
	v_and_b32_e32 v15, 0x80000000, v15
	v_and_b32_e32 v14, 0x80000000, v14
	v_xor_b32_e32 v13, v13, v14
	v_add_f64 v[4:5], v[60:61], -v[4:5]
	v_add_f64 v[2:3], v[24:25], v[2:3]
	v_xor_b32_e32 v5, 0x80000000, v5
	v_cndmask_b32_e32 v2, v4, v2, vcc_lo
	v_lshlrev_b32_e32 v4, 30, v30
	v_cndmask_b32_e32 v3, v5, v3, vcc_lo
	v_lshlrev_b32_e32 v5, 30, v33
	v_xor_b32_e32 v3, v3, v15
	s_waitcnt vmcnt(0)
	v_cmp_class_f64_e64 vcc_lo, v[16:17], 0x1f8
	v_xor_b32_e32 v4, v4, v17
	v_xor_b32_e32 v5, v5, v17
	v_and_b32_e32 v4, 0x80000000, v4
	v_and_b32_e32 v5, 0x80000000, v5
	v_xor_b32_e32 v14, v35, v4
	v_xor_b32_e32 v16, v1, v5
	v_cndmask_b32_e32 v4, 0, v34, vcc_lo
	v_cndmask_b32_e32 v5, 0x7ff80000, v14, vcc_lo
	v_mul_f64 v[14:15], v[8:9], v[48:49]
	v_cndmask_b32_e32 v1, 0x7ff80000, v13, vcc_lo
	v_cndmask_b32_e32 v13, 0x7ff80000, v16, vcc_lo
	v_add_f64 v[16:17], v[8:9], v[54:55]
	v_mul_f64 v[4:5], v[4:5], v[4:5]
	v_cndmask_b32_e32 v2, 0, v2, vcc_lo
	v_cndmask_b32_e32 v3, 0x7ff80000, v3, vcc_lo
	;; [unrolled: 1-line block ×4, first 2 shown]
	v_mul_f64 v[2:3], v[2:3], v[2:3]
	v_mul_f64 v[14:15], v[4:5], v[14:15]
	v_fma_f64 v[30:31], v[8:9], v[2:3], v[54:55]
	v_fma_f64 v[14:15], v[16:17], v[16:17], -v[14:15]
	v_mul_f64 v[32:33], v[4:5], v[14:15]
	v_div_scale_f64 v[2:3], null, v[30:31], v[30:31], v[32:33]
	v_rcp_f64_e32 v[14:15], v[2:3]
	v_fma_f64 v[16:17], -v[2:3], v[14:15], 1.0
	v_fma_f64 v[14:15], v[14:15], v[16:17], v[14:15]
	v_fma_f64 v[16:17], -v[2:3], v[14:15], 1.0
	v_fma_f64 v[14:15], v[14:15], v[16:17], v[14:15]
	v_div_scale_f64 v[16:17], vcc_lo, v[32:33], v[30:31], v[32:33]
	v_mul_f64 v[24:25], v[16:17], v[14:15]
	v_fma_f64 v[2:3], -v[2:3], v[24:25], v[16:17]
	v_div_fmas_f64 v[34:35], v[2:3], v[14:15], v[24:25]
	v_div_scale_f64 v[2:3], null, v[48:49], v[48:49], v[30:31]
	v_rcp_f64_e32 v[14:15], v[2:3]
	v_fma_f64 v[16:17], -v[2:3], v[14:15], 1.0
	v_fma_f64 v[14:15], v[14:15], v[16:17], v[14:15]
	v_fma_f64 v[16:17], -v[2:3], v[14:15], 1.0
	v_fma_f64 v[14:15], v[14:15], v[16:17], v[14:15]
	v_div_scale_f64 v[16:17], vcc_lo, v[30:31], v[48:49], v[30:31]
	v_mul_f64 v[24:25], v[16:17], v[14:15]
	v_fma_f64 v[2:3], -v[2:3], v[24:25], v[16:17]
	v_div_fmas_f64 v[38:39], v[2:3], v[14:15], v[24:25]
	s_clause 0x1
	buffer_load_dword v2, off, s[100:103], 0 offset:184
	buffer_load_dword v3, off, s[100:103], 0 offset:188
	s_waitcnt vmcnt(0)
	v_mul_f64 v[2:3], v[2:3], v[28:29]
	v_mul_f64 v[36:37], v[2:3], v[4:5]
	v_div_scale_f64 v[2:3], null, v[30:31], v[30:31], v[36:37]
	v_rcp_f64_e32 v[4:5], v[2:3]
	v_fma_f64 v[14:15], -v[2:3], v[4:5], 1.0
	v_fma_f64 v[4:5], v[4:5], v[14:15], v[4:5]
	v_fma_f64 v[14:15], -v[2:3], v[4:5], 1.0
	v_fma_f64 v[4:5], v[4:5], v[14:15], v[4:5]
	v_div_scale_f64 v[14:15], vcc_lo, v[36:37], v[30:31], v[36:37]
	v_mul_f64 v[16:17], v[14:15], v[4:5]
	v_fma_f64 v[2:3], -v[2:3], v[16:17], v[14:15]
	v_div_fmas_f64 v[40:41], v[2:3], v[4:5], v[16:17]
	v_div_scale_f64 v[2:3], null, v[30:31], v[30:31], v[46:47]
	v_rcp_f64_e32 v[4:5], v[2:3]
	v_fma_f64 v[14:15], -v[2:3], v[4:5], 1.0
	v_fma_f64 v[4:5], v[4:5], v[14:15], v[4:5]
	v_fma_f64 v[14:15], -v[2:3], v[4:5], 1.0
	v_fma_f64 v[4:5], v[4:5], v[14:15], v[4:5]
	v_div_scale_f64 v[14:15], vcc_lo, v[46:47], v[30:31], v[46:47]
	v_mul_f64 v[16:17], v[14:15], v[4:5]
	v_fma_f64 v[2:3], -v[2:3], v[16:17], v[14:15]
	v_div_fmas_f64 v[42:43], v[2:3], v[4:5], v[16:17]
	v_div_scale_f64 v[2:3], null, v[50:51], v[50:51], v[68:69]
	v_rcp_f64_e32 v[4:5], v[2:3]
	v_fma_f64 v[14:15], -v[2:3], v[4:5], 1.0
	v_fma_f64 v[4:5], v[4:5], v[14:15], v[4:5]
	v_fma_f64 v[14:15], -v[2:3], v[4:5], 1.0
	v_fma_f64 v[4:5], v[4:5], v[14:15], v[4:5]
	v_div_scale_f64 v[14:15], vcc_lo, v[68:69], v[50:51], v[68:69]
	v_mul_f64 v[16:17], v[14:15], v[4:5]
	v_fma_f64 v[2:3], -v[2:3], v[16:17], v[14:15]
	v_div_fmas_f64 v[2:3], v[2:3], v[4:5], v[16:17]
	v_mul_f64 v[4:5], v[18:19], s[0:1]
	s_mov_b32 s0, 0xfefa39ef
	s_mov_b32 s1, 0x3fe62e42
	s_mov_b32 s70, s0
	s_mov_b32 s0, s92
	s_mov_b32 s1, s25
	v_cmp_nlt_f64_e32 vcc_lo, 0x40900000, v[18:19]
	v_rndne_f64_e32 v[4:5], v[4:5]
	v_fma_f64 v[14:15], v[4:5], s[70:71], v[18:19]
	v_cvt_i32_f64_e32 v24, v[4:5]
	v_fma_f64 v[14:15], v[4:5], s[42:43], v[14:15]
	v_writelane_b32 v127, s42, 6
	v_writelane_b32 v127, s43, 7
	v_fma_f64 v[16:17], v[14:15], s[38:39], s[2:3]
	s_mov_b32 s2, 0x623fde64
	s_mov_b32 s3, 0x3ec71dee
	s_mov_b32 s38, 11
	s_mov_b32 s39, 0x3fe00000
	v_fma_f64 v[16:17], v[14:15], v[16:17], s[2:3]
	s_mov_b32 s2, 0x7c89e6b0
	s_mov_b32 s3, 0x3efa0199
	v_fma_f64 v[16:17], v[14:15], v[16:17], s[2:3]
	s_mov_b32 s2, 0x14761f6e
	s_mov_b32 s3, 0x3f2a01a0
	;; [unrolled: 3-line block ×4, first 2 shown]
	v_fma_f64 v[16:17], v[14:15], v[16:17], s[84:85]
	v_fma_f64 v[16:17], v[14:15], v[16:17], s[0:1]
	v_writelane_b32 v127, s0, 24
	v_writelane_b32 v127, s1, 25
	v_fma_f64 v[16:17], v[14:15], v[16:17], s[2:3]
	s_mov_b32 s2, 11
	s_mov_b32 s3, 0x3fe00000
	v_fma_f64 v[16:17], v[14:15], v[16:17], s[2:3]
	v_cmp_ngt_f64_e64 s2, 0xc090cc00, v[18:19]
	v_div_fixup_f64 v[18:19], v[2:3], v[50:51], v[68:69]
	v_div_fixup_f64 v[2:3], v[34:35], v[30:31], v[32:33]
	v_mov_b32_e32 v70, v29
	v_mov_b32_e32 v69, v28
	v_div_fixup_f64 v[28:29], v[40:41], v[30:31], v[36:37]
	v_mul_f64 v[0:1], v[69:70], v[0:1]
	v_mul_f64 v[12:13], v[69:70], v[12:13]
	v_fma_f64 v[16:17], v[14:15], v[16:17], 1.0
	v_mul_f64 v[0:1], v[0:1], -v[0:1]
	v_fma_f64 v[4:5], v[14:15], v[16:17], 1.0
	v_div_fixup_f64 v[14:15], v[42:43], v[30:31], v[46:47]
	v_div_fixup_f64 v[16:17], v[38:39], v[48:49], v[30:31]
	v_add_f64 v[30:31], v[18:19], v[18:19]
	v_mov_b32_e32 v49, v45
	v_mov_b32_e32 v48, v44
	v_mul_f64 v[0:1], v[0:1], 0.5
	v_ldexp_f64 v[4:5], v[4:5], v24
	v_add_f64 v[14:15], -v[14:15], 1.0
	v_mul_f64 v[24:25], v[18:19], v[18:19]
	v_mul_f64 v[16:17], v[16:17], v[64:65]
	v_cndmask_b32_e32 v5, 0x7ff00000, v5, vcc_lo
	s_and_b32 vcc_lo, s2, vcc_lo
	v_fma_f64 v[2:3], v[2:3], v[24:25], -v[14:15]
	v_fma_f64 v[14:15], v[64:65], v[16:17], 1.0
	v_cndmask_b32_e32 v4, 0, v4, vcc_lo
	v_cndmask_b32_e64 v5, 0, v5, s2
	v_fma_f64 v[10:11], v[4:5], v[10:11], v[4:5]
	v_fma_f64 v[2:3], -v[28:29], v[30:31], v[2:3]
	v_div_scale_f64 v[16:17], null, -v[2:3], -v[2:3], v[14:15]
	v_rcp_f64_e32 v[24:25], v[16:17]
	v_fma_f64 v[28:29], -v[16:17], v[24:25], 1.0
	v_fma_f64 v[24:25], v[24:25], v[28:29], v[24:25]
	v_fma_f64 v[28:29], -v[16:17], v[24:25], 1.0
	v_fma_f64 v[24:25], v[24:25], v[28:29], v[24:25]
	v_div_scale_f64 v[28:29], vcc_lo, v[14:15], -v[2:3], v[14:15]
	v_mul_f64 v[30:31], v[28:29], v[24:25]
	v_fma_f64 v[16:17], -v[16:17], v[30:31], v[28:29]
	v_div_fmas_f64 v[16:17], v[16:17], v[24:25], v[30:31]
	v_div_scale_f64 v[24:25], null, v[12:13], v[12:13], v[0:1]
	v_div_fixup_f64 v[2:3], v[16:17], -v[2:3], v[14:15]
	v_rcp_f64_e32 v[28:29], v[24:25]
	v_fma_f64 v[30:31], -v[24:25], v[28:29], 1.0
	v_fma_f64 v[28:29], v[28:29], v[30:31], v[28:29]
	v_fma_f64 v[30:31], -v[24:25], v[28:29], 1.0
	v_fma_f64 v[28:29], v[28:29], v[30:31], v[28:29]
	v_div_scale_f64 v[30:31], vcc_lo, v[0:1], v[12:13], v[0:1]
	v_mul_f64 v[32:33], v[30:31], v[28:29]
	v_fma_f64 v[24:25], -v[24:25], v[32:33], v[30:31]
	v_div_fmas_f64 v[24:25], v[24:25], v[28:29], v[32:33]
	v_cmp_class_f64_e64 vcc_lo, v[4:5], 0x204
	v_div_fixup_f64 v[0:1], v[24:25], v[12:13], v[0:1]
	v_cndmask_b32_e32 v30, v10, v4, vcc_lo
	v_cndmask_b32_e32 v31, v11, v5, vcc_lo
	v_div_scale_f64 v[4:5], null, v[12:13], v[12:13], v[0:1]
	v_rcp_f64_e32 v[10:11], v[4:5]
	v_fma_f64 v[24:25], -v[4:5], v[10:11], 1.0
	v_fma_f64 v[10:11], v[10:11], v[24:25], v[10:11]
	v_fma_f64 v[24:25], -v[4:5], v[10:11], 1.0
	v_fma_f64 v[10:11], v[10:11], v[24:25], v[10:11]
	v_div_scale_f64 v[24:25], vcc_lo, v[0:1], v[12:13], v[0:1]
	v_mul_f64 v[28:29], v[24:25], v[10:11]
	v_fma_f64 v[4:5], -v[4:5], v[28:29], v[24:25]
	v_trunc_f64_e32 v[24:25], v[6:7]
	v_div_fmas_f64 v[4:5], v[4:5], v[10:11], v[28:29]
	v_mul_f64 v[10:11], v[6:7], 0.5
	v_cmp_eq_f64_e32 vcc_lo, v[24:25], v[6:7]
	v_div_fixup_f64 v[0:1], v[4:5], v[12:13], v[0:1]
	v_trunc_f64_e32 v[28:29], v[10:11]
	v_cndmask_b32_e32 v6, 0, v30, vcc_lo
	v_cndmask_b32_e64 v6, v30, v6, s58
	v_cndmask_b32_e64 v6, v6, 0, s88
	v_cmp_neq_f64_e64 s2, v[28:29], v[10:11]
	s_and_b32 s2, vcc_lo, s2
	v_cndmask_b32_e64 v7, 0x3ff00000, v70, s2
	v_cndmask_b32_e64 v11, 0, v70, s2
	s_mov_b32 s2, 0x652b82fe
	s_mov_b32 s3, 0x3ff71547
	v_mul_f64 v[4:5], v[0:1], s[2:3]
	v_bfi_b32 v7, 0x7fffffff, v31, v7
	s_mov_b32 s2, 0x6a5dcb37
	s_mov_b32 s3, 0x3e5ade15
	v_cndmask_b32_e32 v10, 0x7ff80000, v7, vcc_lo
	v_cmp_nlt_f64_e32 vcc_lo, 0x40900000, v[0:1]
	v_cndmask_b32_e64 v7, v7, v10, s58
	v_bfi_b32 v10, 0x7fffffff, v27, v11
	v_cndmask_b32_e64 v7, v7, v10, s88
	v_rndne_f64_e32 v[4:5], v[4:5]
	v_fma_f64 v[10:11], v[4:5], s[70:71], v[0:1]
	v_cvt_i32_f64_e32 v24, v[4:5]
	v_fma_f64 v[10:11], v[4:5], s[42:43], v[10:11]
	s_mov_b32 s42, 0xfca7ab0c
	s_mov_b32 s43, 0x3e928af3
	v_fma_f64 v[12:13], v[10:11], s[2:3], s[42:43]
	s_mov_b32 s2, 0x623fde64
	s_mov_b32 s3, 0x3ec71dee
	;; [unrolled: 1-line block ×4, first 2 shown]
	v_fma_f64 v[12:13], v[10:11], v[12:13], s[2:3]
	s_mov_b32 s2, 0x7c89e6b0
	s_mov_b32 s3, 0x3efa0199
	v_fma_f64 v[12:13], v[10:11], v[12:13], s[2:3]
	s_mov_b32 s2, 0x14761f6e
	s_mov_b32 s3, 0x3f2a01a0
	;; [unrolled: 3-line block ×3, first 2 shown]
	v_fma_f64 v[12:13], v[10:11], v[12:13], s[86:87]
	v_fma_f64 v[12:13], v[10:11], v[12:13], s[84:85]
	;; [unrolled: 1-line block ×3, first 2 shown]
	v_cmp_ngt_f64_e64 s0, 0xc090cc00, v[0:1]
	v_fma_f64 v[12:13], v[10:11], v[12:13], s[68:69]
	s_mov_b32 s68, 0xfca7ab0c
	s_mov_b32 s69, 0x3e928af3
	v_fma_f64 v[12:13], v[10:11], v[12:13], s[38:39]
	s_mov_b32 s38, 0x53c8d4f1
	s_mov_b32 s39, 0x400921fb
	v_fma_f64 v[12:13], v[10:11], v[12:13], 1.0
	v_fma_f64 v[4:5], v[10:11], v[12:13], 1.0
	v_ldexp_f64 v[4:5], v[4:5], v24
	v_mul_f64 v[4:5], 0x417c9c38, v[4:5]
	v_cndmask_b32_e32 v5, 0x7ff00000, v5, vcc_lo
	s_and_b32 vcc_lo, s0, vcc_lo
	v_cndmask_b32_e32 v0, 0, v4, vcc_lo
	v_cndmask_b32_e64 v1, 0, v5, s0
	s_mov_b32 s0, 0x763a43f4
	s_mov_b32 s1, 0x40041b2f
	v_mul_f64 v[0:1], v[6:7], v[0:1]
	v_mul_f64 v[4:5], v[0:1], s[0:1]
	s_mov_b32 s0, 0xd69d246c
	s_mov_b32 s1, 0x3b002d36
	v_mul_f64 v[4:5], v[4:5], s[0:1]
	s_mov_b32 s0, 0xf3a00000
	s_mov_b32 s1, 0x421beb9b
	v_mul_f64 v[4:5], v[4:5], s[0:1]
	v_mul_f64 v[4:5], v[4:5], s[0:1]
	s_mov_b32 s0, 0x635807cb
	s_mov_b32 s1, 0x3a520b02
	v_div_scale_f64 v[6:7], null, 0x40180000, 0x40180000, v[4:5]
	v_rcp_f64_e32 v[10:11], v[6:7]
	v_fma_f64 v[12:13], -v[6:7], v[10:11], 1.0
	v_fma_f64 v[10:11], v[10:11], v[12:13], v[10:11]
	v_fma_f64 v[12:13], -v[6:7], v[10:11], 1.0
	v_fma_f64 v[10:11], v[10:11], v[12:13], v[10:11]
	v_div_scale_f64 v[12:13], vcc_lo, v[4:5], 0x40180000, v[4:5]
	v_mul_f64 v[24:25], v[12:13], v[10:11]
	v_fma_f64 v[6:7], -v[6:7], v[24:25], v[12:13]
	v_div_fmas_f64 v[6:7], v[6:7], v[10:11], v[24:25]
	v_div_fixup_f64 v[4:5], v[6:7], 0x40180000, v[4:5]
	v_div_scale_f64 v[6:7], null, v[69:70], v[69:70], v[4:5]
	v_rcp_f64_e32 v[10:11], v[6:7]
	v_fma_f64 v[12:13], -v[6:7], v[10:11], 1.0
	v_fma_f64 v[10:11], v[10:11], v[12:13], v[10:11]
	v_fma_f64 v[12:13], -v[6:7], v[10:11], 1.0
	v_fma_f64 v[10:11], v[10:11], v[12:13], v[10:11]
	v_div_scale_f64 v[12:13], vcc_lo, v[4:5], v[69:70], v[4:5]
	v_mul_f64 v[24:25], v[12:13], v[10:11]
	v_fma_f64 v[6:7], -v[6:7], v[24:25], v[12:13]
	v_div_fmas_f64 v[6:7], v[6:7], v[10:11], v[24:25]
	v_div_fixup_f64 v[4:5], v[6:7], v[69:70], v[4:5]
	v_cmp_gt_f64_e32 vcc_lo, 0x10000000, v[4:5]
	v_cndmask_b32_e64 v6, 0, 0x100, vcc_lo
	v_cndmask_b32_e64 v24, 0, 0xffffff80, vcc_lo
	v_ldexp_f64 v[4:5], v[4:5], v6
	v_rsq_f64_e32 v[6:7], v[4:5]
	v_cmp_class_f64_e64 vcc_lo, v[4:5], 0x260
	v_mul_f64 v[10:11], v[4:5], v[6:7]
	v_mul_f64 v[6:7], v[6:7], 0.5
	v_fma_f64 v[12:13], -v[6:7], v[10:11], 0.5
	v_fma_f64 v[10:11], v[10:11], v[12:13], v[10:11]
	v_fma_f64 v[6:7], v[6:7], v[12:13], v[6:7]
	v_fma_f64 v[12:13], -v[10:11], v[10:11], v[4:5]
	v_fma_f64 v[10:11], v[12:13], v[6:7], v[10:11]
	v_fma_f64 v[12:13], -v[10:11], v[10:11], v[4:5]
	v_fma_f64 v[6:7], v[12:13], v[6:7], v[10:11]
	v_ldexp_f64 v[6:7], v[6:7], v24
	v_cndmask_b32_e32 v5, v7, v5, vcc_lo
	v_cndmask_b32_e32 v4, v6, v4, vcc_lo
	v_mul_f64 v[4:5], v[4:5], s[2:3]
	v_mul_f64 v[4:5], v[4:5], 0.5
	v_div_scale_f64 v[6:7], null, s[38:39], s[38:39], v[4:5]
	v_rcp_f64_e32 v[10:11], v[6:7]
	v_fma_f64 v[12:13], -v[6:7], v[10:11], 1.0
	v_fma_f64 v[10:11], v[10:11], v[12:13], v[10:11]
	v_fma_f64 v[12:13], -v[6:7], v[10:11], 1.0
	v_fma_f64 v[10:11], v[10:11], v[12:13], v[10:11]
	v_div_scale_f64 v[12:13], vcc_lo, v[4:5], s[38:39], v[4:5]
	v_mul_f64 v[24:25], v[12:13], v[10:11]
	v_fma_f64 v[6:7], -v[6:7], v[24:25], v[12:13]
	v_div_fmas_f64 v[6:7], v[6:7], v[10:11], v[24:25]
	v_cmp_gt_f64_e32 vcc_lo, 0x10000000, v[2:3]
	v_div_fixup_f64 v[4:5], v[6:7], s[38:39], v[4:5]
	v_cndmask_b32_e64 v16, 0, 0x100, vcc_lo
	v_cndmask_b32_e64 v17, 0, 0xffffff80, vcc_lo
	v_ldexp_f64 v[2:3], v[2:3], v16
	v_div_scale_f64 v[6:7], null, s[0:1], s[0:1], v[4:5]
	v_rcp_f64_e32 v[10:11], v[6:7]
	v_fma_f64 v[12:13], -v[6:7], v[10:11], 1.0
	v_fma_f64 v[10:11], v[10:11], v[12:13], v[10:11]
	v_fma_f64 v[12:13], -v[6:7], v[10:11], 1.0
	v_fma_f64 v[10:11], v[10:11], v[12:13], v[10:11]
	v_div_scale_f64 v[12:13], vcc_lo, v[4:5], s[0:1], v[4:5]
	v_mul_f64 v[14:15], v[12:13], v[10:11]
	v_fma_f64 v[6:7], -v[6:7], v[14:15], v[12:13]
	v_div_fmas_f64 v[6:7], v[6:7], v[10:11], v[14:15]
	v_rsq_f64_e32 v[10:11], v[2:3]
	v_cmp_class_f64_e64 vcc_lo, v[2:3], 0x260
	v_div_fixup_f64 v[4:5], v[6:7], s[0:1], v[4:5]
	v_readlane_b32 s0, v127, 2
	v_readlane_b32 s1, v127, 3
	v_mul_f64 v[12:13], v[2:3], v[10:11]
	v_mul_f64 v[10:11], v[10:11], 0.5
	v_div_scale_f64 v[6:7], null, s[42:43], s[42:43], v[4:5]
	v_fma_f64 v[14:15], -v[10:11], v[12:13], 0.5
	v_fma_f64 v[12:13], v[12:13], v[14:15], v[12:13]
	v_fma_f64 v[10:11], v[10:11], v[14:15], v[10:11]
	v_fma_f64 v[14:15], -v[12:13], v[12:13], v[2:3]
	v_fma_f64 v[12:13], v[14:15], v[10:11], v[12:13]
	v_fma_f64 v[14:15], -v[12:13], v[12:13], v[2:3]
	v_fma_f64 v[10:11], v[14:15], v[10:11], v[12:13]
	v_ldexp_f64 v[10:11], v[10:11], v17
	v_cndmask_b32_e32 v3, v11, v3, vcc_lo
	v_cndmask_b32_e32 v2, v10, v2, vcc_lo
	v_rcp_f64_e32 v[10:11], v[6:7]
	v_fma_f64 v[12:13], -v[6:7], v[10:11], 1.0
	v_fma_f64 v[10:11], v[10:11], v[12:13], v[10:11]
	v_fma_f64 v[12:13], -v[6:7], v[10:11], 1.0
	v_fma_f64 v[10:11], v[10:11], v[12:13], v[10:11]
	v_div_scale_f64 v[12:13], vcc_lo, v[4:5], s[42:43], v[4:5]
	v_mul_f64 v[14:15], v[12:13], v[10:11]
	v_fma_f64 v[6:7], -v[6:7], v[14:15], v[12:13]
	s_clause 0x1
	buffer_load_dword v12, off, s[100:103], 0 offset:32
	buffer_load_dword v13, off, s[100:103], 0 offset:36
	v_div_fmas_f64 v[6:7], v[6:7], v[10:11], v[14:15]
	v_mul_f64 v[10:11], v[18:19], v[2:3]
	v_div_fixup_f64 v[4:5], v[6:7], s[42:43], v[4:5]
	s_mov_b32 s42, 0x6a5dcb37
	s_mov_b32 s43, 0x3e5ade15
	s_waitcnt vmcnt(0)
	v_fma_f64 v[2:3], v[12:13], v[10:11], -v[2:3]
	v_fma_f64 v[46:47], v[48:49], v[64:65], v[2:3]
	v_mul_f64 v[18:19], s[0:1], -v[46:47]
	v_readlane_b32 s0, v127, 20
	v_readlane_b32 s1, v127, 21
	s_mov_b32 s39, s1
	v_writelane_b32 v127, s0, 20
	v_mul_f64 v[0:1], v[0:1], s[38:39]
	s_mov_b32 s38, 0x4222de17
	s_mov_b32 s39, 0x3fbdee67
	v_writelane_b32 v127, s1, 21
	s_mov_b32 s0, 0xe8584caa
	s_mov_b32 s1, 0x3ffbb67a
	v_add_f64 v[12:13], v[18:19], v[18:19]
	v_mul_f64 v[0:1], v[0:1], s[2:3]
	v_div_scale_f64 v[2:3], null, 0x40080000, 0x40080000, v[12:13]
	v_mul_f64 v[0:1], v[0:1], s[2:3]
	s_mov_b32 s2, 0xf3a00000
	s_mov_b32 s3, 0x421beb9b
	v_rcp_f64_e32 v[10:11], v[2:3]
	v_mul_f64 v[0:1], v[18:19], v[0:1]
	v_fma_f64 v[14:15], -v[2:3], v[10:11], 1.0
	v_fma_f64 v[10:11], v[10:11], v[14:15], v[10:11]
	v_fma_f64 v[14:15], -v[2:3], v[10:11], 1.0
	v_fma_f64 v[10:11], v[10:11], v[14:15], v[10:11]
	v_div_scale_f64 v[14:15], vcc_lo, v[12:13], 0x40080000, v[12:13]
	v_mul_f64 v[16:17], v[14:15], v[10:11]
	v_fma_f64 v[2:3], -v[2:3], v[16:17], v[14:15]
	v_div_fmas_f64 v[2:3], v[2:3], v[10:11], v[16:17]
	v_div_fixup_f64 v[2:3], v[2:3], 0x40080000, v[12:13]
	v_mul_f64 v[12:13], v[18:19], v[12:13]
	v_div_scale_f64 v[6:7], null, v[4:5], v[4:5], v[2:3]
	v_mul_f64 v[12:13], v[18:19], v[12:13]
	v_rcp_f64_e32 v[10:11], v[6:7]
	v_fma_f64 v[14:15], -v[6:7], v[10:11], 1.0
	v_fma_f64 v[10:11], v[10:11], v[14:15], v[10:11]
	v_fma_f64 v[14:15], -v[6:7], v[10:11], 1.0
	v_fma_f64 v[10:11], v[10:11], v[14:15], v[10:11]
	v_div_scale_f64 v[14:15], vcc_lo, v[2:3], v[4:5], v[2:3]
	v_mul_f64 v[16:17], v[14:15], v[10:11]
	v_fma_f64 v[6:7], -v[6:7], v[16:17], v[14:15]
	v_div_fmas_f64 v[6:7], v[6:7], v[10:11], v[16:17]
	v_div_fixup_f64 v[2:3], v[6:7], v[4:5], v[2:3]
	v_div_scale_f64 v[4:5], null, v[20:21], v[20:21], v[2:3]
	v_rcp_f64_e32 v[6:7], v[4:5]
	v_fma_f64 v[10:11], -v[4:5], v[6:7], 1.0
	v_fma_f64 v[6:7], v[6:7], v[10:11], v[6:7]
	v_fma_f64 v[10:11], -v[4:5], v[6:7], 1.0
	v_fma_f64 v[6:7], v[6:7], v[10:11], v[6:7]
	v_div_scale_f64 v[10:11], vcc_lo, v[2:3], v[20:21], v[2:3]
	v_mul_f64 v[14:15], v[10:11], v[6:7]
	v_fma_f64 v[4:5], -v[4:5], v[14:15], v[10:11]
	v_div_fmas_f64 v[4:5], v[4:5], v[6:7], v[14:15]
	v_div_fixup_f64 v[2:3], v[4:5], v[20:21], v[2:3]
	v_div_scale_f64 v[4:5], null, v[20:21], v[20:21], v[2:3]
	v_rcp_f64_e32 v[6:7], v[4:5]
	v_fma_f64 v[10:11], -v[4:5], v[6:7], 1.0
	v_fma_f64 v[6:7], v[6:7], v[10:11], v[6:7]
	v_fma_f64 v[10:11], -v[4:5], v[6:7], 1.0
	v_fma_f64 v[6:7], v[6:7], v[10:11], v[6:7]
	v_div_scale_f64 v[10:11], vcc_lo, v[2:3], v[20:21], v[2:3]
	v_mul_f64 v[14:15], v[10:11], v[6:7]
	v_fma_f64 v[4:5], -v[4:5], v[14:15], v[10:11]
	v_div_fmas_f64 v[4:5], v[4:5], v[6:7], v[14:15]
	v_div_scale_f64 v[6:7], null, s[0:1], s[0:1], v[0:1]
	v_rcp_f64_e32 v[10:11], v[6:7]
	v_fma_f64 v[14:15], -v[6:7], v[10:11], 1.0
	v_fma_f64 v[10:11], v[10:11], v[14:15], v[10:11]
	v_fma_f64 v[14:15], -v[6:7], v[10:11], 1.0
	v_fma_f64 v[10:11], v[10:11], v[14:15], v[10:11]
	v_div_scale_f64 v[14:15], vcc_lo, v[0:1], s[0:1], v[0:1]
	v_mul_f64 v[16:17], v[14:15], v[10:11]
	v_fma_f64 v[6:7], -v[6:7], v[16:17], v[14:15]
	v_div_fmas_f64 v[6:7], v[6:7], v[10:11], v[16:17]
	v_div_fixup_f64 v[0:1], v[6:7], s[0:1], v[0:1]
	s_mov_b32 s1, s99
	s_mov_b32 s0, s24
	v_div_scale_f64 v[6:7], null, v[72:73], v[72:73], v[0:1]
	v_rcp_f64_e32 v[10:11], v[6:7]
	v_fma_f64 v[14:15], -v[6:7], v[10:11], 1.0
	v_fma_f64 v[10:11], v[10:11], v[14:15], v[10:11]
	v_fma_f64 v[14:15], -v[6:7], v[10:11], 1.0
	v_fma_f64 v[10:11], v[10:11], v[14:15], v[10:11]
	v_div_scale_f64 v[14:15], vcc_lo, v[0:1], v[72:73], v[0:1]
	v_mul_f64 v[16:17], v[14:15], v[10:11]
	v_fma_f64 v[6:7], -v[6:7], v[16:17], v[14:15]
	v_div_fmas_f64 v[10:11], v[6:7], v[10:11], v[16:17]
	v_div_fixup_f64 v[6:7], v[4:5], v[20:21], v[2:3]
	v_div_fixup_f64 v[0:1], v[10:11], v[72:73], v[0:1]
	v_frexp_mant_f64_e64 v[2:3], |v[6:7]|
	v_frexp_exp_i32_f64_e32 v4, v[6:7]
	v_cmp_eq_f64_e64 s4, 1.0, v[6:7]
	v_mov_b32_e32 v73, 0x3ff00000
	v_cmp_gt_f64_e32 vcc_lo, s[0:1], v[2:3]
	v_subrev_co_ci_u32_e64 v37, null, 0, v4, vcc_lo
	v_div_scale_f64 v[4:5], null, s[2:3], s[2:3], v[0:1]
	v_cndmask_b32_e64 v24, 0, 1, vcc_lo
	v_ldexp_f64 v[2:3], v[2:3], v24
	v_rcp_f64_e32 v[10:11], v[4:5]
	v_add_f64 v[24:25], v[2:3], -1.0
	v_fma_f64 v[14:15], -v[4:5], v[10:11], 1.0
	v_fma_f64 v[10:11], v[10:11], v[14:15], v[10:11]
	v_fma_f64 v[14:15], -v[4:5], v[10:11], 1.0
	v_fma_f64 v[10:11], v[10:11], v[14:15], v[10:11]
	v_div_scale_f64 v[14:15], vcc_lo, v[0:1], s[2:3], v[0:1]
	s_mov_b32 s2, 0x968915a9
	s_mov_b32 s3, 0x3fba6564
	v_mul_f64 v[16:17], v[14:15], v[10:11]
	v_fma_f64 v[4:5], -v[4:5], v[16:17], v[14:15]
	v_div_fmas_f64 v[10:11], v[4:5], v[10:11], v[16:17]
	v_add_f64 v[4:5], v[2:3], 1.0
	v_rcp_f64_e32 v[14:15], v[4:5]
	v_add_f64 v[27:28], v[4:5], -1.0
	v_add_f64 v[2:3], v[2:3], -v[27:28]
	v_fma_f64 v[16:17], -v[4:5], v[14:15], 1.0
	v_fma_f64 v[14:15], v[16:17], v[14:15], v[14:15]
	v_fma_f64 v[16:17], -v[4:5], v[14:15], 1.0
	v_fma_f64 v[14:15], v[16:17], v[14:15], v[14:15]
	v_mul_f64 v[16:17], v[24:25], v[14:15]
	v_mul_f64 v[29:30], v[4:5], v[16:17]
	v_fma_f64 v[4:5], v[16:17], v[4:5], -v[29:30]
	v_fma_f64 v[2:3], v[16:17], v[2:3], v[4:5]
	v_add_f64 v[4:5], v[29:30], v[2:3]
	v_add_f64 v[27:28], v[24:25], -v[4:5]
	v_add_f64 v[29:30], v[4:5], -v[29:30]
	;; [unrolled: 1-line block ×5, first 2 shown]
	v_add_f64 v[2:3], v[2:3], v[4:5]
	v_add_f64 v[2:3], v[27:28], v[2:3]
	v_mul_f64 v[2:3], v[14:15], v[2:3]
	v_add_f64 v[4:5], v[16:17], v[2:3]
	v_add_f64 v[14:15], v[4:5], -v[16:17]
	v_mul_f64 v[16:17], v[4:5], v[4:5]
	v_add_f64 v[2:3], v[2:3], -v[14:15]
	v_fma_f64 v[14:15], v[4:5], v[4:5], -v[16:17]
	v_add_f64 v[24:25], v[2:3], v[2:3]
	v_fma_f64 v[14:15], v[4:5], v[24:25], v[14:15]
	v_add_f64 v[24:25], v[16:17], v[14:15]
	v_fma_f64 v[27:28], v[24:25], s[38:39], s[2:3]
	s_mov_b32 s2, 0x3abe935a
	s_mov_b32 s3, 0x3fbe25e4
	v_add_f64 v[16:17], v[24:25], -v[16:17]
	v_mul_f64 v[33:34], v[4:5], v[24:25]
	v_fma_f64 v[27:28], v[24:25], v[27:28], s[2:3]
	s_mov_b32 s2, 0x47e6c9c2
	s_mov_b32 s3, 0x3fc110ef
	v_add_f64 v[14:15], v[14:15], -v[16:17]
	v_fma_f64 v[27:28], v[24:25], v[27:28], s[2:3]
	s_mov_b32 s2, 0xcfa74449
	s_mov_b32 s3, 0x3fc3b13b
	v_fma_f64 v[27:28], v[24:25], v[27:28], s[2:3]
	s_mov_b32 s2, 0x71bf3c30
	s_mov_b32 s3, 0x3fc745d1
	;; [unrolled: 3-line block ×5, first 2 shown]
	v_fma_f64 v[27:28], v[24:25], v[27:28], s[2:3]
	s_mov_b32 s3, s99
	v_writelane_b32 v127, s2, 12
	v_writelane_b32 v127, s3, 13
	s_mov_b32 s2, 0xd5df274d
	s_mov_b32 s3, 0x3c8543b0
	v_mul_f64 v[29:30], v[24:25], v[27:28]
	v_fma_f64 v[16:17], v[24:25], v[27:28], -v[29:30]
	v_fma_f64 v[16:17], v[14:15], v[27:28], v[16:17]
	v_add_f64 v[27:28], v[29:30], v[16:17]
	v_add_f64 v[31:32], v[27:28], s[0:1]
	v_add_f64 v[29:30], v[27:28], -v[29:30]
	v_readlane_b32 s0, v127, 4
	s_mov_b32 s0, s24
	v_readlane_b32 s1, v127, 5
	v_writelane_b32 v127, s0, 4
	v_writelane_b32 v127, s1, 5
	v_readlane_b32 s86, v127, 6
	v_readlane_b32 s87, v127, 7
	;; [unrolled: 1-line block ×4, first 2 shown]
	v_add_f64 v[35:36], v[31:32], s[0:1]
	v_add_f64 v[16:17], v[16:17], -v[29:30]
	v_fma_f64 v[29:30], v[24:25], v[4:5], -v[33:34]
	s_mov_b32 s0, 0xfefa39ef
	s_mov_b32 s1, 0x3fe62e42
	v_add_f64 v[27:28], v[27:28], -v[35:36]
	v_add_f64 v[16:17], v[16:17], s[2:3]
	v_fma_f64 v[24:25], v[24:25], v[2:3], v[29:30]
	v_ldexp_f64 v[2:3], v[2:3], 1
	s_mov_b64 s[2:3], s[84:85]
	s_mov_b32 s84, 0x55555511
	s_mov_b32 s85, 0x3fc55555
	v_add_f64 v[16:17], v[16:17], v[27:28]
	v_fma_f64 v[14:15], v[14:15], v[4:5], v[24:25]
	v_ldexp_f64 v[4:5], v[4:5], 1
	v_add_f64 v[24:25], v[31:32], v[16:17]
	v_add_f64 v[27:28], v[33:34], v[14:15]
	v_add_f64 v[29:30], v[31:32], -v[24:25]
	v_mul_f64 v[31:32], v[27:28], v[24:25]
	v_add_f64 v[33:34], v[27:28], -v[33:34]
	v_add_f64 v[16:17], v[16:17], v[29:30]
	v_fma_f64 v[29:30], v[27:28], v[24:25], -v[31:32]
	v_add_f64 v[14:15], v[14:15], -v[33:34]
	v_fma_f64 v[16:17], v[27:28], v[16:17], v[29:30]
	v_fma_f64 v[14:15], v[14:15], v[24:25], v[16:17]
	v_cvt_f64_i32_e32 v[24:25], v37
	v_add_f64 v[16:17], v[31:32], v[14:15]
	v_add_f64 v[27:28], v[4:5], v[16:17]
	v_add_f64 v[29:30], v[16:17], -v[31:32]
	v_mul_f64 v[31:32], v[24:25], s[0:1]
	v_add_f64 v[4:5], v[27:28], -v[4:5]
	v_add_f64 v[14:15], v[14:15], -v[29:30]
	v_fma_f64 v[29:30], v[24:25], s[0:1], -v[31:32]
	s_mov_b32 s0, 0x3b39803f
	s_mov_b32 s1, 0x3c7abc9e
	v_add_f64 v[4:5], v[16:17], -v[4:5]
	v_add_f64 v[2:3], v[2:3], v[14:15]
	v_fma_f64 v[14:15], v[24:25], s[0:1], v[29:30]
	s_mov_b32 s0, 0x652b82fe
	s_mov_b32 s1, 0x3ff71547
	v_add_f64 v[2:3], v[2:3], v[4:5]
	v_add_f64 v[4:5], v[31:32], v[14:15]
	;; [unrolled: 1-line block ×3, first 2 shown]
	v_add_f64 v[31:32], v[4:5], -v[31:32]
	v_add_f64 v[24:25], v[4:5], v[16:17]
	v_add_f64 v[27:28], v[16:17], -v[27:28]
	v_add_f64 v[14:15], v[14:15], -v[31:32]
	v_cndmask_b32_e64 v31, 0x3fc55555, v22, s4
	v_add_f64 v[29:30], v[24:25], -v[4:5]
	v_add_f64 v[2:3], v[2:3], -v[27:28]
	;; [unrolled: 1-line block ×4, first 2 shown]
	v_add_f64 v[27:28], v[14:15], v[2:3]
	v_cndmask_b32_e64 v30, 0x55555555, 0, s4
	v_add_f64 v[4:5], v[4:5], -v[33:34]
	v_add_f64 v[4:5], v[16:17], v[4:5]
	v_add_f64 v[16:17], v[27:28], -v[14:15]
	v_add_f64 v[4:5], v[27:28], v[4:5]
	v_add_f64 v[27:28], v[27:28], -v[16:17]
	v_add_f64 v[2:3], v[2:3], -v[16:17]
	v_add_f64 v[34:35], v[24:25], v[4:5]
	v_add_f64 v[14:15], v[14:15], -v[27:28]
	v_cndmask_b32_e64 v27, 0x3fd00000, v22, s4
	v_add_f64 v[16:17], v[34:35], -v[24:25]
	v_add_f64 v[2:3], v[2:3], v[14:15]
	v_add_f64 v[4:5], v[4:5], -v[16:17]
	v_add_f64 v[2:3], v[2:3], v[4:5]
	v_add_f64 v[32:33], v[34:35], v[2:3]
	v_add_f64 v[4:5], v[32:33], -v[34:35]
	v_mul_f64 v[14:15], v[30:31], v[32:33]
	v_mul_f64 v[24:25], v[26:27], v[32:33]
	v_add_f64 v[34:35], v[2:3], -v[4:5]
	v_fma_f64 v[2:3], v[30:31], v[32:33], -v[14:15]
	v_cmp_class_f64_e64 vcc_lo, v[14:15], 0x204
	v_fma_f64 v[28:29], v[26:27], v[32:33], -v[24:25]
	v_fma_f64 v[2:3], v[30:31], v[34:35], v[2:3]
	v_fma_f64 v[28:29], v[26:27], v[34:35], v[28:29]
	v_add_f64 v[4:5], v[14:15], v[2:3]
	v_add_f64 v[36:37], v[24:25], v[28:29]
	v_cndmask_b32_e32 v17, v5, v15, vcc_lo
	v_cndmask_b32_e32 v16, v4, v14, vcc_lo
	v_add_f64 v[4:5], v[4:5], -v[14:15]
	v_cmp_class_f64_e64 vcc_lo, v[24:25], 0x204
	v_mul_f64 v[14:15], v[16:17], s[0:1]
	s_mov_b32 s0, 0x623fde64
	s_mov_b32 s1, 0x3ec71dee
	v_add_f64 v[2:3], v[2:3], -v[4:5]
	v_cndmask_b32_e32 v39, v37, v25, vcc_lo
	v_cndmask_b32_e32 v38, v36, v24, vcc_lo
	v_add_f64 v[4:5], v[36:37], -v[24:25]
	v_rndne_f64_e32 v[14:15], v[14:15]
	v_cmp_neq_f64_e64 vcc_lo, 0x7ff00000, |v[16:17]|
	v_add_f64 v[4:5], v[28:29], -v[4:5]
	v_fma_f64 v[24:25], v[14:15], s[70:71], v[16:17]
	v_cndmask_b32_e32 v3, 0, v3, vcc_lo
	v_cndmask_b32_e32 v2, 0, v2, vcc_lo
	v_cmp_neq_f64_e64 vcc_lo, 0x7ff00000, |v[38:39]|
	v_cvt_i32_f64_e32 v36, v[14:15]
	v_fma_f64 v[24:25], v[14:15], s[86:87], v[24:25]
	v_cndmask_b32_e32 v5, 0, v5, vcc_lo
	v_cndmask_b32_e32 v4, 0, v4, vcc_lo
	v_cmp_nlt_f64_e32 vcc_lo, 0x40900000, v[16:17]
	v_fma_f64 v[28:29], v[24:25], s[42:43], s[68:69]
	v_fma_f64 v[28:29], v[24:25], v[28:29], s[0:1]
	s_mov_b32 s0, 0x7c89e6b0
	s_mov_b32 s1, 0x3efa0199
	v_fma_f64 v[28:29], v[24:25], v[28:29], s[0:1]
	s_mov_b32 s0, 0x14761f6e
	s_mov_b32 s1, 0x3f2a01a0
	;; [unrolled: 3-line block ×4, first 2 shown]
	v_fma_f64 v[28:29], v[24:25], v[28:29], s[2:3]
	v_fma_f64 v[28:29], v[24:25], v[28:29], s[38:39]
	;; [unrolled: 1-line block ×4, first 2 shown]
	v_cmp_ngt_f64_e64 s1, 0xc090cc00, v[16:17]
	v_fma_f64 v[28:29], v[24:25], v[28:29], 1.0
	v_fma_f64 v[14:15], v[24:25], v[28:29], 1.0
	v_ldexp_f64 v[14:15], v[14:15], v36
	v_cndmask_b32_e32 v15, 0x7ff00000, v15, vcc_lo
	s_and_b32 vcc_lo, s1, vcc_lo
	v_cndmask_b32_e32 v14, 0, v14, vcc_lo
	v_cmp_nlt_f64_e32 vcc_lo, 0x40900000, v[38:39]
	v_cndmask_b32_e64 v15, 0, v15, s1
	s_mov_b32 s0, 0x652b82fe
	s_mov_b32 s1, 0x3ff71547
	v_mul_f64 v[16:17], v[38:39], s[0:1]
	s_mov_b32 s0, 0x623fde64
	s_mov_b32 s1, 0x3ec71dee
	v_fma_f64 v[2:3], v[14:15], v[2:3], v[14:15]
	v_rndne_f64_e32 v[16:17], v[16:17]
	v_fma_f64 v[24:25], v[16:17], s[70:71], v[38:39]
	v_cvt_i32_f64_e32 v36, v[16:17]
	v_fma_f64 v[24:25], v[16:17], s[86:87], v[24:25]
	s_mov_b32 s86, 0xfca7ab0c
	s_mov_b32 s87, 0x3e928af3
	v_fma_f64 v[28:29], v[24:25], s[42:43], s[68:69]
	s_mov_b64 s[42:43], s[2:3]
	s_mov_b64 s[68:69], s[38:39]
	v_writelane_b32 v127, s42, 8
	v_writelane_b32 v127, s43, 9
	v_fma_f64 v[28:29], v[24:25], v[28:29], s[0:1]
	s_mov_b32 s0, 0x7c89e6b0
	s_mov_b32 s1, 0x3efa0199
	v_fma_f64 v[28:29], v[24:25], v[28:29], s[0:1]
	s_mov_b32 s0, 0x14761f6e
	s_mov_b32 s1, 0x3f2a01a0
	;; [unrolled: 3-line block ×4, first 2 shown]
	v_fma_f64 v[28:29], v[24:25], v[28:29], s[2:3]
	v_cmp_gt_f64_e64 s3, 0, v[6:7]
	v_fma_f64 v[28:29], v[24:25], v[28:29], s[38:39]
	s_mov_b32 s38, 0x9999999c
	s_mov_b32 s39, 0x3fd99999
	v_fma_f64 v[28:29], v[24:25], v[28:29], s[84:85]
	s_mov_b32 s84, 0x45a1cac1
	s_mov_b32 s85, 0x401033b6
	v_fma_f64 v[28:29], v[24:25], v[28:29], s[0:1]
	v_cmp_ngt_f64_e64 s1, 0xc090cc00, v[38:39]
	v_fma_f64 v[28:29], v[24:25], v[28:29], 1.0
	v_fma_f64 v[16:17], v[24:25], v[28:29], 1.0
	v_ldexp_f64 v[16:17], v[16:17], v36
	v_cndmask_b32_e32 v17, 0x7ff00000, v17, vcc_lo
	s_and_b32 vcc_lo, s1, vcc_lo
	v_cndmask_b32_e32 v16, 0, v16, vcc_lo
	v_cmp_class_f64_e64 vcc_lo, v[14:15], 0x204
	v_cndmask_b32_e64 v17, 0, v17, s1
	v_cndmask_b32_e32 v39, v2, v14, vcc_lo
	v_cndmask_b32_e32 v24, v3, v15, vcc_lo
	v_fma_f64 v[2:3], v[16:17], v[4:5], v[16:17]
	v_cmp_class_f64_e64 vcc_lo, v[16:17], 0x204
	v_trunc_f64_e32 v[4:5], v[30:31]
	v_cndmask_b32_e32 v36, v2, v16, vcc_lo
	v_cndmask_b32_e32 v16, v3, v17, vcc_lo
	v_mul_f64 v[2:3], v[30:31], 0.5
	v_cmp_eq_f64_e32 vcc_lo, v[4:5], v[30:31]
	v_trunc_f64_e32 v[4:5], v[26:27]
	v_trunc_f64_e32 v[14:15], v[2:3]
	v_cndmask_b32_e32 v40, 0, v39, vcc_lo
	v_cmp_neq_f64_e64 s1, v[14:15], v[2:3]
	v_mul_f64 v[2:3], v[26:27], 0.5
	s_and_b32 s1, vcc_lo, s1
	v_trunc_f64_e32 v[14:15], v[2:3]
	v_cndmask_b32_e64 v17, 0x3ff00000, v7, s1
	v_cndmask_b32_e64 v38, 0, v7, s1
	v_cmp_eq_f64_e64 s1, v[4:5], v[26:27]
	v_bfi_b32 v41, 0x7fffffff, v24, v17
	v_cndmask_b32_e32 v43, 0x7ff80000, v41, vcc_lo
	v_cmp_eq_f64_e32 vcc_lo, 0, v[6:7]
	v_cmp_neq_f64_e64 s2, v[14:15], v[2:3]
	v_cndmask_b32_e64 v3, v39, v40, s3
	v_cndmask_b32_e64 v27, 0, v36, s1
	v_cndmask_b32_e64 v44, 0x7ff00000, 0, vcc_lo
	v_bfi_b32 v4, 0x7fffffff, v44, v38
	s_and_b32 s2, s1, s2
	v_cndmask_b32_e64 v2, 0x3ff00000, v7, s2
	v_cndmask_b32_e64 v31, 0, v7, s2
	v_cmp_class_f64_e64 s2, v[6:7], 0x204
	v_bfi_b32 v37, 0x7fffffff, v16, v2
	v_cndmask_b32_e64 v2, v41, v43, s3
	v_cndmask_b32_e64 v42, 0x7ff80000, v37, s1
	s_mov_b32 s0, 0x45a1cac1
	s_mov_b32 s1, 0x401033b6
	s_or_b32 s2, vcc_lo, s2
	v_cndmask_b32_e64 v38, v3, 0, s2
	v_cndmask_b32_e64 v39, v2, v4, s2
	v_div_scale_f64 v[2:3], null, v[38:39], v[38:39], s[0:1]
	v_rcp_f64_e32 v[4:5], v[2:3]
	v_fma_f64 v[14:15], -v[2:3], v[4:5], 1.0
	v_fma_f64 v[4:5], v[4:5], v[14:15], v[4:5]
	v_fma_f64 v[14:15], -v[2:3], v[4:5], 1.0
	v_fma_f64 v[4:5], v[4:5], v[14:15], v[4:5]
	v_div_scale_f64 v[14:15], vcc_lo, s[0:1], v[38:39], s[0:1]
	s_mov_b32 s0, s44
	s_mov_b32 s1, s39
	v_readlane_b32 s38, v127, 6
	v_readlane_b32 s39, v127, 7
	v_mul_f64 v[16:17], v[14:15], v[4:5]
	v_fma_f64 v[2:3], -v[2:3], v[16:17], v[14:15]
	v_div_fmas_f64 v[40:41], v[2:3], v[4:5], v[16:17]
	v_bfi_b32 v3, 0x7fffffff, v44, v31
	v_cndmask_b32_e64 v2, v36, v27, s3
	v_cndmask_b32_e64 v4, v37, v42, s3
	;; [unrolled: 1-line block ×5, first 2 shown]
	v_div_scale_f64 v[4:5], null, v[2:3], v[2:3], s[0:1]
	v_rcp_f64_e32 v[14:15], v[4:5]
	v_fma_f64 v[16:17], -v[4:5], v[14:15], 1.0
	v_fma_f64 v[14:15], v[14:15], v[16:17], v[14:15]
	v_fma_f64 v[16:17], -v[4:5], v[14:15], 1.0
	v_fma_f64 v[14:15], v[14:15], v[16:17], v[14:15]
	v_div_scale_f64 v[16:17], vcc_lo, s[0:1], v[2:3], s[0:1]
	v_mul_f64 v[24:25], v[16:17], v[14:15]
	v_fma_f64 v[4:5], -v[4:5], v[24:25], v[16:17]
	v_div_fmas_f64 v[4:5], v[4:5], v[14:15], v[24:25]
	v_cmp_gt_f64_e32 vcc_lo, 0x10000000, v[6:7]
	v_div_fixup_f64 v[42:43], v[4:5], v[2:3], s[0:1]
	v_cndmask_b32_e64 v2, 0, 0x100, vcc_lo
	v_cndmask_b32_e64 v24, 0, 0xffffff80, vcc_lo
	s_mov_b32 s0, 0xd1b717
	s_mov_b32 s1, 0x3fe102de
	v_ldexp_f64 v[2:3], v[6:7], v2
	v_rsq_f64_e32 v[4:5], v[2:3]
	v_cmp_class_f64_e64 vcc_lo, v[2:3], 0x260
	v_mul_f64 v[14:15], v[2:3], v[4:5]
	v_mul_f64 v[4:5], v[4:5], 0.5
	v_fma_f64 v[16:17], -v[4:5], v[14:15], 0.5
	v_fma_f64 v[14:15], v[14:15], v[16:17], v[14:15]
	v_fma_f64 v[4:5], v[4:5], v[16:17], v[4:5]
	v_fma_f64 v[16:17], -v[14:15], v[14:15], v[2:3]
	v_fma_f64 v[14:15], v[16:17], v[4:5], v[14:15]
	v_fma_f64 v[16:17], -v[14:15], v[14:15], v[2:3]
	v_fma_f64 v[4:5], v[16:17], v[4:5], v[14:15]
	v_ldexp_f64 v[4:5], v[4:5], v24
	v_cndmask_b32_e32 v37, v5, v3, vcc_lo
	v_cndmask_b32_e32 v36, v4, v2, vcc_lo
	v_mul_f64 v[2:3], v[30:31], v[32:33]
	v_fma_f64 v[4:5], v[30:31], v[32:33], -v[2:3]
	v_cmp_class_f64_e64 vcc_lo, v[2:3], 0x204
	v_fma_f64 v[4:5], v[30:31], v[34:35], v[4:5]
	v_add_f64 v[14:15], v[2:3], v[4:5]
	v_cndmask_b32_e32 v17, v15, v3, vcc_lo
	v_cndmask_b32_e32 v16, v14, v2, vcc_lo
	v_add_f64 v[2:3], v[14:15], -v[2:3]
	v_cmp_neq_f64_e64 vcc_lo, 0x7ff00000, |v[16:17]|
	v_add_f64 v[2:3], v[4:5], -v[2:3]
	v_div_scale_f64 v[4:5], null, v[36:37], v[36:37], s[0:1]
	v_cndmask_b32_e32 v3, 0, v3, vcc_lo
	v_rcp_f64_e32 v[14:15], v[4:5]
	v_cndmask_b32_e32 v2, 0, v2, vcc_lo
	v_fma_f64 v[24:25], -v[4:5], v[14:15], 1.0
	v_fma_f64 v[14:15], v[14:15], v[24:25], v[14:15]
	v_fma_f64 v[24:25], -v[4:5], v[14:15], 1.0
	v_fma_f64 v[14:15], v[14:15], v[24:25], v[14:15]
	v_div_scale_f64 v[24:25], vcc_lo, s[0:1], v[36:37], s[0:1]
	s_mov_b32 s0, 0x652b82fe
	s_mov_b32 s1, 0x3ff71547
	v_mul_f64 v[27:28], v[24:25], v[14:15]
	v_fma_f64 v[4:5], -v[4:5], v[27:28], v[24:25]
	v_div_fmas_f64 v[32:33], v[4:5], v[14:15], v[27:28]
	v_mul_f64 v[4:5], v[16:17], s[0:1]
	s_mov_b32 s0, 0x6a5dcb37
	s_mov_b32 s1, 0x3e5ade15
	v_cmp_nlt_f64_e32 vcc_lo, 0x40900000, v[16:17]
	v_rndne_f64_e32 v[4:5], v[4:5]
	v_fma_f64 v[14:15], v[4:5], s[70:71], v[16:17]
	v_cvt_i32_f64_e32 v27, v[4:5]
	v_writelane_b32 v127, s70, 26
	v_writelane_b32 v127, s71, 27
	v_fma_f64 v[14:15], v[4:5], s[38:39], v[14:15]
	v_fma_f64 v[24:25], v[14:15], s[0:1], s[86:87]
	s_mov_b32 s0, 0x623fde64
	s_mov_b32 s1, 0x3ec71dee
	s_mov_b64 s[86:87], s[68:69]
	s_mov_b32 s68, 0x380646ba
	s_mov_b32 s69, 0x3a8067c6
	v_mul_f64 v[12:13], v[12:13], s[68:69]
	v_fma_f64 v[24:25], v[14:15], v[24:25], s[0:1]
	s_mov_b32 s0, 0x7c89e6b0
	s_mov_b32 s1, 0x3efa0199
	v_fma_f64 v[24:25], v[14:15], v[24:25], s[0:1]
	s_mov_b32 s0, 0x14761f6e
	s_mov_b32 s1, 0x3f2a01a0
	;; [unrolled: 3-line block ×5, first 2 shown]
	v_fma_f64 v[24:25], v[14:15], v[24:25], s[86:87]
	v_fma_f64 v[24:25], v[14:15], v[24:25], s[0:1]
	s_mov_b32 s0, 11
	s_mov_b32 s1, 0x3fe00000
	v_fma_f64 v[24:25], v[14:15], v[24:25], s[0:1]
	v_cmp_ngt_f64_e64 s0, 0xc090cc00, v[16:17]
	v_fma_f64 v[24:25], v[14:15], v[24:25], 1.0
	v_fma_f64 v[4:5], v[14:15], v[24:25], 1.0
	v_div_scale_f64 v[14:15], null, s[42:43], s[42:43], v[12:13]
	v_ldexp_f64 v[4:5], v[4:5], v27
	v_rcp_f64_e32 v[16:17], v[14:15]
	v_cndmask_b32_e32 v5, 0x7ff00000, v5, vcc_lo
	s_and_b32 vcc_lo, s0, vcc_lo
	v_fma_f64 v[24:25], -v[14:15], v[16:17], 1.0
	v_cndmask_b32_e32 v4, 0, v4, vcc_lo
	v_cndmask_b32_e64 v5, 0, v5, s0
	v_fma_f64 v[2:3], v[4:5], v[2:3], v[4:5]
	v_fma_f64 v[16:17], v[16:17], v[24:25], v[16:17]
	v_fma_f64 v[24:25], -v[14:15], v[16:17], 1.0
	v_fma_f64 v[16:17], v[16:17], v[24:25], v[16:17]
	v_div_scale_f64 v[24:25], vcc_lo, v[12:13], s[42:43], v[12:13]
	v_mul_f64 v[27:28], v[24:25], v[16:17]
	v_fma_f64 v[14:15], -v[14:15], v[27:28], v[24:25]
	v_div_fmas_f64 v[14:15], v[14:15], v[16:17], v[27:28]
	v_cmp_class_f64_e64 vcc_lo, v[4:5], 0x204
	v_cndmask_b32_e32 v24, v2, v4, vcc_lo
	v_cndmask_b32_e32 v25, v3, v5, vcc_lo
	v_mul_f64 v[2:3], v[30:31], 0.5
	v_trunc_f64_e32 v[4:5], v[30:31]
	v_trunc_f64_e32 v[16:17], v[2:3]
	v_cmp_eq_f64_e32 vcc_lo, v[4:5], v[30:31]
	v_cmp_neq_f64_e64 s0, v[16:17], v[2:3]
	v_cndmask_b32_e32 v27, 0, v24, vcc_lo
	s_and_b32 s0, vcc_lo, s0
	v_cndmask_b32_e64 v2, 0x3ff00000, v7, s0
	v_cndmask_b32_e64 v28, 0, v7, s0
	s_mov_b32 s0, 0x9cd9fbd6
	s_mov_b32 s1, 0x3ca3e5ba
	v_bfi_b32 v25, 0x7fffffff, v25, v2
	v_div_fixup_f64 v[2:3], v[14:15], s[42:43], v[12:13]
	v_cndmask_b32_e32 v29, 0x7ff80000, v25, vcc_lo
	v_div_scale_f64 v[4:5], null, s[42:43], s[42:43], v[2:3]
	v_rcp_f64_e32 v[12:13], v[4:5]
	v_fma_f64 v[14:15], -v[4:5], v[12:13], 1.0
	v_fma_f64 v[12:13], v[12:13], v[14:15], v[12:13]
	v_fma_f64 v[14:15], -v[4:5], v[12:13], 1.0
	v_fma_f64 v[12:13], v[12:13], v[14:15], v[12:13]
	v_div_scale_f64 v[14:15], vcc_lo, v[2:3], s[42:43], v[2:3]
	s_mov_b32 s42, 11
	s_mov_b32 s43, 0x3fe00000
	v_mul_f64 v[16:17], v[14:15], v[12:13]
	v_fma_f64 v[4:5], -v[4:5], v[16:17], v[14:15]
	v_bfi_b32 v14, 0x7fffffff, v44, v28
	v_div_fmas_f64 v[4:5], v[4:5], v[12:13], v[16:17]
	v_cndmask_b32_e64 v13, v25, v29, s3
	v_cndmask_b32_e64 v12, v24, v27, s3
	v_cndmask_b32_e64 v13, v13, v14, s2
	v_mul_f64 v[14:15], v[18:19], s[68:69]
	v_cndmask_b32_e64 v12, v12, 0, s2
	s_mov_b32 s2, 0xc84b5dcc
	s_mov_b32 s3, 0xbffe3d07
	;; [unrolled: 1-line block ×4, first 2 shown]
	v_mul_f64 v[12:13], v[12:13], s[2:3]
	s_mov_b64 s[2:3], s[38:39]
	v_readlane_b32 s38, v127, 8
	v_readlane_b32 s39, v127, 9
	v_div_scale_f64 v[16:17], null, s[0:1], s[0:1], v[14:15]
	v_rcp_f64_e32 v[24:25], v[16:17]
	v_fma_f64 v[27:28], -v[16:17], v[24:25], 1.0
	v_fma_f64 v[24:25], v[24:25], v[27:28], v[24:25]
	v_fma_f64 v[27:28], -v[16:17], v[24:25], 1.0
	v_fma_f64 v[24:25], v[24:25], v[27:28], v[24:25]
	v_div_scale_f64 v[27:28], vcc_lo, v[14:15], s[0:1], v[14:15]
	v_mul_f64 v[29:30], v[27:28], v[24:25]
	v_fma_f64 v[16:17], -v[16:17], v[29:30], v[27:28]
	v_add_f64 v[27:28], v[42:43], 1.0
	v_div_fmas_f64 v[16:17], v[16:17], v[24:25], v[29:30]
	v_div_fixup_f64 v[24:25], v[40:41], v[38:39], s[84:85]
	v_cmp_u_f64_e32 vcc_lo, v[6:7], v[6:7]
	s_mov_b32 s84, 0x7c89e6b0
	s_mov_b32 s85, 0x3efa0199
	v_div_fixup_f64 v[14:15], v[16:17], s[0:1], v[14:15]
	s_mov_b32 s0, 0x652b82fe
	v_cndmask_b32_e64 v7, v25, 0x7ff80000, vcc_lo
	v_cndmask_b32_e64 v6, v24, 0, vcc_lo
	;; [unrolled: 1-line block ×6, first 2 shown]
	s_mov_b32 s1, 0x3ff71547
	v_div_scale_f64 v[16:17], null, v[66:67], v[66:67], v[14:15]
	v_rcp_f64_e32 v[27:28], v[16:17]
	v_fma_f64 v[29:30], -v[16:17], v[27:28], 1.0
	v_fma_f64 v[27:28], v[27:28], v[29:30], v[27:28]
	v_fma_f64 v[29:30], -v[16:17], v[27:28], 1.0
	v_fma_f64 v[27:28], v[27:28], v[29:30], v[27:28]
	v_div_scale_f64 v[29:30], vcc_lo, v[14:15], v[66:67], v[14:15]
	v_mul_f64 v[34:35], v[29:30], v[27:28]
	v_fma_f64 v[16:17], -v[16:17], v[34:35], v[29:30]
	v_div_fmas_f64 v[16:17], v[16:17], v[27:28], v[34:35]
	v_mul_f64 v[27:28], v[12:13], s[0:1]
	s_mov_b32 s0, 0x6a5dcb37
	s_mov_b32 s1, 0x3e5ade15
	v_cmp_nlt_f64_e32 vcc_lo, 0x40900000, v[12:13]
	v_div_fixup_f64 v[14:15], v[16:17], v[66:67], v[14:15]
	v_rndne_f64_e32 v[27:28], v[27:28]
	v_mov_b32_e32 v66, v49
	v_mov_b32_e32 v65, v48
	v_fma_f64 v[29:30], v[27:28], s[70:71], v[12:13]
	v_cvt_i32_f64_e32 v31, v[27:28]
	v_fma_f64 v[29:30], v[27:28], s[2:3], v[29:30]
	v_fma_f64 v[34:35], v[29:30], s[0:1], s[68:69]
	s_mov_b32 s0, 0x623fde64
	s_mov_b32 s1, 0x3ec71dee
	v_fma_f64 v[34:35], v[29:30], v[34:35], s[0:1]
	s_mov_b32 s0, 0x14761f6e
	s_mov_b32 s1, 0x3f2a01a0
	v_fma_f64 v[34:35], v[29:30], v[34:35], s[84:85]
	v_fma_f64 v[34:35], v[29:30], v[34:35], s[0:1]
	s_mov_b32 s0, 0x1852b7b0
	s_mov_b32 s1, 0x3f56c16c
	v_fma_f64 v[34:35], v[29:30], v[34:35], s[0:1]
	s_mov_b32 s0, 0x55555511
	s_mov_b32 s1, 0x3fc55555
	v_fma_f64 v[34:35], v[29:30], v[34:35], s[38:39]
	v_fma_f64 v[34:35], v[29:30], v[34:35], s[86:87]
	;; [unrolled: 1-line block ×3, first 2 shown]
	v_cmp_ngt_f64_e64 s0, 0xc090cc00, v[12:13]
	v_fma_f64 v[34:35], v[29:30], v[34:35], s[42:43]
	v_fma_f64 v[34:35], v[29:30], v[34:35], 1.0
	v_fma_f64 v[27:28], v[29:30], v[34:35], 1.0
	v_ldexp_f64 v[27:28], v[27:28], v31
	v_cndmask_b32_e32 v28, 0x7ff00000, v28, vcc_lo
	s_and_b32 vcc_lo, s0, vcc_lo
	v_cndmask_b32_e32 v12, 0, v27, vcc_lo
	v_cmp_nlt_f64_e32 vcc_lo, 0x40900000, v[14:15]
	v_cndmask_b32_e64 v13, 0, v28, s0
	s_mov_b32 s0, 0x652b82fe
	s_mov_b32 s1, 0x3ff71547
	v_mul_f64 v[16:17], v[14:15], s[0:1]
	s_mov_b32 s0, 0x6a5dcb37
	s_mov_b32 s1, 0x3e5ade15
	v_rndne_f64_e32 v[16:17], v[16:17]
	v_fma_f64 v[27:28], v[16:17], s[70:71], v[14:15]
	v_cvt_i32_f64_e32 v31, v[16:17]
	s_mov_b32 s70, 0x1852b7b0
	s_mov_b32 s71, 0x3f56c16c
	v_fma_f64 v[27:28], v[16:17], s[2:3], v[27:28]
	s_mov_b32 s2, 0xf3a00000
	s_mov_b32 s3, 0x421beb9b
	v_div_fixup_f64 v[2:3], v[4:5], s[2:3], v[2:3]
	v_div_fixup_f64 v[0:1], v[10:11], s[2:3], v[0:1]
	v_fma_f64 v[29:30], v[27:28], s[0:1], s[68:69]
	s_mov_b32 s0, 0x623fde64
	s_mov_b32 s1, 0x3ec71dee
	s_mov_b32 s68, 11
	s_mov_b32 s69, 0x3fe00000
	v_fma_f64 v[29:30], v[27:28], v[29:30], s[0:1]
	s_mov_b32 s0, 0x14761f6e
	s_mov_b32 s1, 0x3f2a01a0
	v_fma_f64 v[29:30], v[27:28], v[29:30], s[84:85]
	s_mov_b64 s[84:85], s[86:87]
	v_fma_f64 v[29:30], v[27:28], v[29:30], s[0:1]
	s_mov_b32 s0, 0x1852b7b0
	s_mov_b32 s1, 0x3f56c16c
	v_fma_f64 v[29:30], v[27:28], v[29:30], s[0:1]
	s_mov_b32 s0, 0x55555511
	s_mov_b32 s1, 0x3fc55555
	v_fma_f64 v[29:30], v[27:28], v[29:30], s[38:39]
	v_fma_f64 v[29:30], v[27:28], v[29:30], s[86:87]
	s_mov_b32 s86, 0x55555511
	s_mov_b32 s87, 0x3fc55555
	v_fma_f64 v[29:30], v[27:28], v[29:30], s[0:1]
	v_cmp_ngt_f64_e64 s0, 0xc090cc00, v[14:15]
	v_fma_f64 v[29:30], v[27:28], v[29:30], s[42:43]
	v_fma_f64 v[29:30], v[27:28], v[29:30], 1.0
	v_fma_f64 v[16:17], v[27:28], v[29:30], 1.0
	v_ldexp_f64 v[16:17], v[16:17], v31
	v_add_f64 v[16:17], v[16:17], -1.0
	v_cndmask_b32_e32 v17, 0x7ff00000, v17, vcc_lo
	s_and_b32 vcc_lo, s0, vcc_lo
	v_cndmask_b32_e32 v14, 0, v16, vcc_lo
	v_cndmask_b32_e64 v15, 0xbff00000, v17, s0
	s_mov_b32 s0, 0xd1b717
	s_mov_b32 s1, 0x3fe102de
	v_div_scale_f64 v[4:5], null, v[14:15], v[14:15], v[2:3]
	v_rcp_f64_e32 v[16:17], v[4:5]
	v_fma_f64 v[27:28], -v[4:5], v[16:17], 1.0
	v_fma_f64 v[16:17], v[16:17], v[27:28], v[16:17]
	v_fma_f64 v[27:28], -v[4:5], v[16:17], 1.0
	v_fma_f64 v[16:17], v[16:17], v[27:28], v[16:17]
	v_div_scale_f64 v[27:28], vcc_lo, v[2:3], v[14:15], v[2:3]
	v_mul_f64 v[29:30], v[27:28], v[16:17]
	v_fma_f64 v[4:5], -v[4:5], v[29:30], v[27:28]
	v_div_fmas_f64 v[4:5], v[4:5], v[16:17], v[29:30]
	v_div_fixup_f64 v[16:17], v[32:33], v[36:37], s[0:1]
	v_readlane_b32 s0, v127, 22
	v_readlane_b32 s1, v127, 23
	s_mov_b32 s3, s1
	s_mov_b32 s0, 0x652b82fe
	;; [unrolled: 1-line block ×5, first 2 shown]
	v_writelane_b32 v127, s0, 22
	v_writelane_b32 v127, s1, 23
	v_div_fixup_f64 v[2:3], v[4:5], v[14:15], v[2:3]
	v_add_f64 v[16:17], v[16:17], v[24:25]
	v_readlane_b32 s42, v127, 26
	v_readlane_b32 s43, v127, 27
	;; [unrolled: 1-line block ×4, first 2 shown]
	v_mul_f64 v[6:7], v[6:7], v[16:17]
	s_clause 0x1
	buffer_load_dword v16, off, s[100:103], 0 offset:136
	buffer_load_dword v17, off, s[100:103], 0 offset:140
	v_mul_f64 v[6:7], v[6:7], v[12:13]
	v_mul_f64 v[0:1], v[6:7], v[0:1]
	s_waitcnt vmcnt(0)
	v_mul_f64 v[16:17], 0x41506738, v[16:17]
	v_mul_f64 v[10:11], 0x410208e0, v[16:17]
	;; [unrolled: 1-line block ×3, first 2 shown]
	v_div_scale_f64 v[4:5], null, v[2:3], v[2:3], v[0:1]
	v_rcp_f64_e32 v[6:7], v[4:5]
	v_fma_f64 v[10:11], -v[4:5], v[6:7], 1.0
	v_fma_f64 v[6:7], v[6:7], v[10:11], v[6:7]
	v_fma_f64 v[10:11], -v[4:5], v[6:7], 1.0
	v_fma_f64 v[6:7], v[6:7], v[10:11], v[6:7]
	v_div_scale_f64 v[10:11], vcc_lo, v[0:1], v[2:3], v[0:1]
	v_mul_f64 v[12:13], v[10:11], v[6:7]
	v_fma_f64 v[4:5], -v[4:5], v[12:13], v[10:11]
	v_div_fmas_f64 v[4:5], v[4:5], v[6:7], v[12:13]
	v_div_scale_f64 v[6:7], null, v[18:19], v[18:19], v[0:1]
	v_rcp_f64_e32 v[10:11], v[6:7]
	v_fma_f64 v[12:13], -v[6:7], v[10:11], 1.0
	v_fma_f64 v[10:11], v[10:11], v[12:13], v[10:11]
	v_fma_f64 v[12:13], -v[6:7], v[10:11], 1.0
	v_fma_f64 v[10:11], v[10:11], v[12:13], v[10:11]
	v_div_scale_f64 v[12:13], vcc_lo, v[0:1], v[18:19], v[0:1]
	v_mul_f64 v[14:15], v[12:13], v[10:11]
	v_fma_f64 v[6:7], -v[6:7], v[14:15], v[12:13]
	v_div_fmas_f64 v[6:7], v[6:7], v[10:11], v[14:15]
	v_div_fixup_f64 v[6:7], v[6:7], v[18:19], v[0:1]
	v_div_fixup_f64 v[0:1], v[4:5], v[2:3], v[0:1]
	v_div_scale_f64 v[10:11], null, v[18:19], v[18:19], v[6:7]
	v_rcp_f64_e32 v[12:13], v[10:11]
	v_fma_f64 v[14:15], -v[10:11], v[12:13], 1.0
	v_fma_f64 v[12:13], v[12:13], v[14:15], v[12:13]
	v_fma_f64 v[14:15], -v[10:11], v[12:13], 1.0
	v_fma_f64 v[12:13], v[12:13], v[14:15], v[12:13]
	v_div_scale_f64 v[14:15], vcc_lo, v[6:7], v[18:19], v[6:7]
	v_mul_f64 v[16:17], v[14:15], v[12:13]
	v_fma_f64 v[10:11], -v[10:11], v[16:17], v[14:15]
	v_div_fmas_f64 v[10:11], v[10:11], v[12:13], v[16:17]
	v_div_fixup_f64 v[6:7], v[10:11], v[18:19], v[6:7]
	v_div_scale_f64 v[10:11], null, v[18:19], v[18:19], v[6:7]
	v_rcp_f64_e32 v[12:13], v[10:11]
	v_fma_f64 v[14:15], -v[10:11], v[12:13], 1.0
	v_fma_f64 v[12:13], v[12:13], v[14:15], v[12:13]
	v_fma_f64 v[14:15], -v[10:11], v[12:13], 1.0
	v_fma_f64 v[12:13], v[12:13], v[14:15], v[12:13]
	v_div_scale_f64 v[14:15], vcc_lo, v[6:7], v[18:19], v[6:7]
	v_mul_f64 v[16:17], v[14:15], v[12:13]
	v_fma_f64 v[10:11], -v[10:11], v[16:17], v[14:15]
	v_div_fmas_f64 v[10:11], v[10:11], v[12:13], v[16:17]
	s_clause 0x1
	buffer_load_dword v13, off, s[100:103], 0 offset:176
	buffer_load_dword v14, off, s[100:103], 0 offset:180
	s_waitcnt vmcnt(0)
	v_fma_f64 v[13:14], -v[46:47], v[0:1], v[13:14]
	v_mul_f64 v[0:1], v[13:14], s[2:3]
	v_cmp_ngt_f64_e32 vcc_lo, 0xc0900000, v[13:14]
	s_mov_b32 s2, 0x6a5dcb37
	s_mov_b32 s3, 0x3e5ade15
	v_rndne_f64_e32 v[0:1], v[0:1]
	v_fma_f64 v[2:3], v[0:1], s[42:43], -v[13:14]
	buffer_store_dword v13, off, s[100:103], 0 offset:176 ; 4-byte Folded Spill
	buffer_store_dword v14, off, s[100:103], 0 offset:180 ; 4-byte Folded Spill
	v_cvt_i32_f64_e32 v12, v[0:1]
	v_fma_f64 v[2:3], v[0:1], s[0:1], v[2:3]
	s_mov_b32 s0, 0xfca7ab0c
	s_mov_b32 s1, 0x3e928af3
	v_fma_f64 v[4:5], v[2:3], s[2:3], s[0:1]
	s_mov_b32 s0, 0x623fde64
	s_mov_b32 s1, 0x3ec71dee
	;; [unrolled: 3-line block ×4, first 2 shown]
	v_fma_f64 v[4:5], v[2:3], v[4:5], s[0:1]
	v_fma_f64 v[4:5], v[2:3], v[4:5], s[70:71]
	;; [unrolled: 1-line block ×5, first 2 shown]
	s_mov_b32 s87, s43
	v_fma_f64 v[4:5], v[2:3], v[4:5], s[68:69]
	v_fma_f64 v[4:5], v[2:3], v[4:5], 1.0
	v_fma_f64 v[0:1], v[2:3], v[4:5], 1.0
	v_div_fixup_f64 v[2:3], v[10:11], v[18:19], v[6:7]
	v_ldexp_f64 v[0:1], v[0:1], v12
	v_cndmask_b32_e32 v1, 0x7ff00000, v1, vcc_lo
	v_cmp_nlt_f64_e64 s0, 0x4090cc00, v[13:14]
	s_and_b32 vcc_lo, s0, vcc_lo
	v_cndmask_b32_e64 v1, 0, v1, s0
	v_cndmask_b32_e32 v0, 0, v0, vcc_lo
	s_xor_b32 s0, exec_lo, -1
	v_mul_f64 v[0:1], v[2:3], v[0:1]
	s_clause 0x1
	buffer_load_dword v2, off, s[100:103], 0 offset:168
	buffer_load_dword v3, off, s[100:103], 0 offset:172
	s_waitcnt vmcnt(0)
	v_fma_f64 v[46:47], -v[46:47], v[0:1], v[2:3]
.LBB1_78:                               ;   in Loop: Header=BB1_79 Depth=1
	s_or_b32 exec_lo, exec_lo, s46
	s_and_b32 s0, exec_lo, s0
	s_or_b32 s33, s0, s33
	s_andn2_b32 exec_lo, exec_lo, s33
	s_cbranch_execz .LBB1_174
.LBB1_79:                               ; =>This Loop Header: Depth=1
                                        ;     Child Loop BB1_81 Depth 2
                                        ;       Child Loop BB1_93 Depth 3
	s_mov_b32 s3, 0
	buffer_store_dword v46, off, s[100:103], 0 offset:168 ; 4-byte Folded Spill
	buffer_store_dword v47, off, s[100:103], 0 offset:172 ; 4-byte Folded Spill
                                        ; implicit-def: $sgpr2
	s_branch .LBB1_81
.LBB1_80:                               ;   in Loop: Header=BB1_81 Depth=2
	s_or_b32 exec_lo, exec_lo, s0
	s_xor_b32 s0, s4, -1
	s_and_b32 s1, exec_lo, s1
	s_or_b32 s3, s1, s3
	s_andn2_b32 s1, s2, exec_lo
	s_and_b32 s0, s0, exec_lo
	s_or_b32 s2, s1, s0
	s_andn2_b32 exec_lo, exec_lo, s3
	s_cbranch_execz .LBB1_147
.LBB1_81:                               ;   Parent Loop BB1_79 Depth=1
                                        ; =>  This Loop Header: Depth=2
                                        ;       Child Loop BB1_93 Depth 3
	s_clause 0x1
	buffer_load_dword v14, off, s[100:103], 0
	buffer_load_dword v15, off, s[100:103], 0 offset:4
	buffer_store_dword v52, off, s[100:103], 0 offset:136 ; 4-byte Folded Spill
	buffer_store_dword v53, off, s[100:103], 0 offset:140 ; 4-byte Folded Spill
                                        ; implicit-def: $vgpr36
                                        ; implicit-def: $vgpr0_vgpr1
                                        ; implicit-def: $vgpr6_vgpr7
	s_waitcnt vmcnt(0)
	v_cmp_ngt_f64_e64 s0, 0x41d00000, |v[14:15]|
	v_trig_preop_f64 v[18:19], |v[14:15]|, 0
	v_trig_preop_f64 v[10:11], |v[14:15]|, 1
	v_ldexp_f64 v[30:31], |v[14:15]|, 0xffffff80
	v_trig_preop_f64 v[12:13], |v[14:15]|, 2
	v_and_b32_e32 v37, 0x7fffffff, v15
	s_and_saveexec_b32 s1, s0
	s_xor_b32 s1, exec_lo, s1
	s_cbranch_execz .LBB1_83
; %bb.82:                               ;   in Loop: Header=BB1_81 Depth=2
	v_cmp_le_f64_e64 vcc_lo, 0x7b000000, |v[14:15]|
	s_mov_b32 s92, s94
	s_mov_b32 s99, s97
	v_cndmask_b32_e32 v1, v37, v31, vcc_lo
	v_cndmask_b32_e32 v0, v14, v30, vcc_lo
	v_mul_f64 v[6:7], v[18:19], v[0:1]
	v_mul_f64 v[32:33], v[10:11], v[0:1]
	v_fma_f64 v[34:35], v[18:19], v[0:1], -v[6:7]
	v_add_f64 v[38:39], v[32:33], v[34:35]
	v_add_f64 v[40:41], v[38:39], -v[32:33]
	v_add_f64 v[34:35], v[34:35], -v[40:41]
	;; [unrolled: 1-line block ×4, first 2 shown]
	v_fma_f64 v[32:33], v[10:11], v[0:1], -v[32:33]
	v_add_f64 v[34:35], v[34:35], v[40:41]
	v_mul_f64 v[40:41], v[12:13], v[0:1]
	v_add_f64 v[42:43], v[40:41], v[32:33]
	v_fma_f64 v[0:1], v[12:13], v[0:1], -v[40:41]
	v_add_f64 v[44:45], v[42:43], -v[40:41]
	v_add_f64 v[32:33], v[32:33], -v[44:45]
	;; [unrolled: 1-line block ×4, first 2 shown]
	v_add_f64 v[32:33], v[32:33], v[44:45]
	v_add_f64 v[44:45], v[42:43], v[34:35]
	v_add_f64 v[46:47], v[44:45], -v[42:43]
	v_add_f64 v[34:35], v[34:35], -v[46:47]
	;; [unrolled: 1-line block ×4, first 2 shown]
	v_add_f64 v[46:47], v[6:7], v[38:39]
	v_add_f64 v[34:35], v[34:35], v[42:43]
	v_add_f64 v[6:7], v[46:47], -v[6:7]
	v_ldexp_f64 v[46:47], v[46:47], -2
	v_add_f64 v[32:33], v[32:33], v[34:35]
	v_add_f64 v[6:7], v[38:39], -v[6:7]
	v_fract_f64_e32 v[48:49], v[46:47]
	v_cmp_neq_f64_e64 vcc_lo, 0x7ff00000, |v[46:47]|
	v_add_f64 v[0:1], v[0:1], v[32:33]
	v_add_f64 v[34:35], v[6:7], v[44:45]
	v_ldexp_f64 v[48:49], v[48:49], 2
	v_add_f64 v[6:7], v[34:35], -v[6:7]
	v_cndmask_b32_e32 v39, 0, v49, vcc_lo
	v_cndmask_b32_e32 v38, 0, v48, vcc_lo
	v_add_f64 v[32:33], v[34:35], v[38:39]
	v_add_f64 v[6:7], v[44:45], -v[6:7]
	v_cmp_gt_f64_e32 vcc_lo, 0, v[32:33]
	v_add_f64 v[0:1], v[6:7], v[0:1]
	v_cndmask_b32_e64 v27, 0, 0x40100000, vcc_lo
	v_add_f64 v[32:33], v[38:39], v[26:27]
	v_add_f64 v[38:39], v[34:35], v[32:33]
	v_cvt_i32_f64_e32 v2, v[38:39]
	v_cvt_f64_i32_e32 v[38:39], v2
	v_add_f64 v[32:33], v[32:33], -v[38:39]
	v_add_f64 v[6:7], v[34:35], v[32:33]
	v_add_f64 v[32:33], v[6:7], -v[32:33]
	v_cmp_le_f64_e32 vcc_lo, 0.5, v[6:7]
	v_add_f64 v[32:33], v[34:35], -v[32:33]
	v_cndmask_b32_e64 v27, 0, 0x3ff00000, vcc_lo
	v_add_co_ci_u32_e64 v36, null, 0, v2, vcc_lo
	v_add_f64 v[6:7], v[6:7], -v[26:27]
	v_add_f64 v[0:1], v[0:1], v[32:33]
	v_add_f64 v[32:33], v[6:7], v[0:1]
	v_add_f64 v[6:7], v[32:33], -v[6:7]
	v_add_f64 v[0:1], v[0:1], -v[6:7]
	v_mul_f64 v[6:7], v[32:33], s[92:93]
	v_fma_f64 v[34:35], v[32:33], s[92:93], -v[6:7]
	v_fma_f64 v[32:33], v[32:33], s[98:99], v[34:35]
	v_fma_f64 v[32:33], v[0:1], s[92:93], v[32:33]
	v_add_f64 v[0:1], v[6:7], v[32:33]
	v_add_f64 v[6:7], v[0:1], -v[6:7]
	v_add_f64 v[6:7], v[32:33], -v[6:7]
	s_andn2_saveexec_b32 s1, s1
	s_cbranch_execz .LBB1_85
	s_branch .LBB1_84
.LBB1_83:                               ;   in Loop: Header=BB1_81 Depth=2
	s_andn2_saveexec_b32 s1, s1
	s_cbranch_execz .LBB1_85
.LBB1_84:                               ;   in Loop: Header=BB1_81 Depth=2
	v_mul_f64 v[0:1], |v[14:15]|, s[6:7]
	s_mov_b32 s96, s16
	v_rndne_f64_e32 v[32:33], v[0:1]
	v_fma_f64 v[0:1], v[32:33], s[94:95], |v[14:15]|
	v_mul_f64 v[6:7], v[32:33], s[16:17]
	v_cvt_i32_f64_e32 v36, v[32:33]
	v_fma_f64 v[38:39], v[32:33], s[16:17], v[0:1]
	v_add_f64 v[34:35], v[0:1], v[6:7]
	v_add_f64 v[0:1], v[0:1], -v[34:35]
	v_add_f64 v[34:35], v[34:35], -v[38:39]
	v_add_f64 v[0:1], v[0:1], v[6:7]
	v_fma_f64 v[6:7], v[32:33], s[96:97], v[6:7]
	v_add_f64 v[0:1], v[34:35], v[0:1]
	v_add_f64 v[0:1], v[0:1], -v[6:7]
	v_fma_f64 v[6:7], v[32:33], s[10:11], v[0:1]
	v_add_f64 v[0:1], v[38:39], v[6:7]
	v_add_f64 v[34:35], v[0:1], -v[38:39]
	v_add_f64 v[6:7], v[6:7], -v[34:35]
.LBB1_85:                               ;   in Loop: Header=BB1_81 Depth=2
	s_or_b32 exec_lo, exec_lo, s1
                                        ; implicit-def: $vgpr27
                                        ; implicit-def: $vgpr32_vgpr33
                                        ; implicit-def: $vgpr34_vgpr35
	s_and_saveexec_b32 s1, s0
	s_xor_b32 s0, exec_lo, s1
	s_cbranch_execz .LBB1_87
; %bb.86:                               ;   in Loop: Header=BB1_81 Depth=2
	v_cmp_le_f64_e64 vcc_lo, 0x7b000000, |v[14:15]|
	s_mov_b32 s92, s94
	s_mov_b32 s99, s97
	v_cndmask_b32_e32 v31, v37, v31, vcc_lo
	v_cndmask_b32_e32 v30, v14, v30, vcc_lo
	v_mul_f64 v[32:33], v[18:19], v[30:31]
	v_mul_f64 v[34:35], v[10:11], v[30:31]
	v_fma_f64 v[18:19], v[18:19], v[30:31], -v[32:33]
	v_fma_f64 v[10:11], v[10:11], v[30:31], -v[34:35]
	v_add_f64 v[37:38], v[34:35], v[18:19]
	v_add_f64 v[39:40], v[37:38], -v[34:35]
	v_add_f64 v[18:19], v[18:19], -v[39:40]
	;; [unrolled: 1-line block ×4, first 2 shown]
	v_mul_f64 v[39:40], v[12:13], v[30:31]
	v_add_f64 v[18:19], v[18:19], v[34:35]
	v_fma_f64 v[12:13], v[12:13], v[30:31], -v[39:40]
	v_add_f64 v[30:31], v[39:40], v[10:11]
	v_add_f64 v[34:35], v[30:31], -v[39:40]
	v_add_f64 v[10:11], v[10:11], -v[34:35]
	v_add_f64 v[34:35], v[30:31], -v[34:35]
	v_add_f64 v[34:35], v[39:40], -v[34:35]
	v_add_f64 v[39:40], v[30:31], v[18:19]
	v_add_f64 v[10:11], v[10:11], v[34:35]
	v_add_f64 v[41:42], v[39:40], -v[30:31]
	v_add_f64 v[18:19], v[18:19], -v[41:42]
	;; [unrolled: 1-line block ×4, first 2 shown]
	v_add_f64 v[41:42], v[32:33], v[37:38]
	v_add_f64 v[18:19], v[18:19], v[30:31]
	v_add_f64 v[32:33], v[41:42], -v[32:33]
	v_ldexp_f64 v[41:42], v[41:42], -2
	v_add_f64 v[10:11], v[10:11], v[18:19]
	v_add_f64 v[30:31], v[37:38], -v[32:33]
	v_fract_f64_e32 v[43:44], v[41:42]
	v_cmp_neq_f64_e64 vcc_lo, 0x7ff00000, |v[41:42]|
	v_add_f64 v[10:11], v[12:13], v[10:11]
	v_add_f64 v[18:19], v[30:31], v[39:40]
	v_ldexp_f64 v[43:44], v[43:44], 2
	v_add_f64 v[30:31], v[18:19], -v[30:31]
	v_cndmask_b32_e32 v33, 0, v44, vcc_lo
	v_cndmask_b32_e32 v32, 0, v43, vcc_lo
	v_add_f64 v[12:13], v[18:19], v[32:33]
	v_add_f64 v[30:31], v[39:40], -v[30:31]
	v_cmp_gt_f64_e32 vcc_lo, 0, v[12:13]
	v_add_f64 v[10:11], v[30:31], v[10:11]
	v_cndmask_b32_e64 v27, 0, 0x40100000, vcc_lo
	v_add_f64 v[12:13], v[32:33], v[26:27]
	v_add_f64 v[32:33], v[18:19], v[12:13]
	v_cvt_i32_f64_e32 v2, v[32:33]
	v_cvt_f64_i32_e32 v[32:33], v2
	v_add_f64 v[12:13], v[12:13], -v[32:33]
	v_add_f64 v[30:31], v[18:19], v[12:13]
	v_add_f64 v[12:13], v[30:31], -v[12:13]
	v_cmp_le_f64_e32 vcc_lo, 0.5, v[30:31]
	v_add_f64 v[12:13], v[18:19], -v[12:13]
	v_cndmask_b32_e64 v27, 0, 0x3ff00000, vcc_lo
	v_add_f64 v[18:19], v[30:31], -v[26:27]
	v_add_co_ci_u32_e64 v27, null, 0, v2, vcc_lo
	v_add_f64 v[10:11], v[10:11], v[12:13]
	v_add_f64 v[12:13], v[18:19], v[10:11]
	v_add_f64 v[18:19], v[12:13], -v[18:19]
	v_add_f64 v[10:11], v[10:11], -v[18:19]
	v_mul_f64 v[18:19], v[12:13], s[92:93]
	v_fma_f64 v[30:31], v[12:13], s[92:93], -v[18:19]
	v_fma_f64 v[12:13], v[12:13], s[98:99], v[30:31]
	v_fma_f64 v[10:11], v[10:11], s[92:93], v[12:13]
	v_add_f64 v[32:33], v[18:19], v[10:11]
	v_add_f64 v[12:13], v[32:33], -v[18:19]
	v_add_f64 v[34:35], v[10:11], -v[12:13]
	s_andn2_saveexec_b32 s0, s0
	s_cbranch_execnz .LBB1_88
	s_branch .LBB1_89
.LBB1_87:                               ;   in Loop: Header=BB1_81 Depth=2
	s_andn2_saveexec_b32 s0, s0
	s_cbranch_execz .LBB1_89
.LBB1_88:                               ;   in Loop: Header=BB1_81 Depth=2
	v_mul_f64 v[10:11], |v[14:15]|, s[6:7]
	s_mov_b32 s96, s16
	v_rndne_f64_e32 v[10:11], v[10:11]
	v_fma_f64 v[12:13], v[10:11], s[94:95], |v[14:15]|
	v_mul_f64 v[18:19], v[10:11], s[16:17]
	v_cvt_i32_f64_e32 v27, v[10:11]
	v_fma_f64 v[34:35], v[10:11], s[16:17], v[12:13]
	v_add_f64 v[30:31], v[12:13], v[18:19]
	v_add_f64 v[12:13], v[12:13], -v[30:31]
	v_add_f64 v[30:31], v[30:31], -v[34:35]
	v_add_f64 v[12:13], v[12:13], v[18:19]
	v_fma_f64 v[18:19], v[10:11], s[96:97], v[18:19]
	v_add_f64 v[12:13], v[30:31], v[12:13]
	v_add_f64 v[12:13], v[12:13], -v[18:19]
	v_fma_f64 v[12:13], v[10:11], s[10:11], v[12:13]
	v_add_f64 v[32:33], v[34:35], v[12:13]
	v_add_f64 v[18:19], v[32:33], -v[34:35]
	v_add_f64 v[34:35], v[12:13], -v[18:19]
.LBB1_89:                               ;   in Loop: Header=BB1_81 Depth=2
	s_or_b32 exec_lo, exec_lo, s0
	v_mul_f64 v[10:11], v[32:33], v[32:33]
	v_mul_f64 v[37:38], v[34:35], 0.5
	v_mul_f64 v[43:44], v[6:7], 0.5
	s_mov_b32 s4, s24
	v_cmp_class_f64_e64 s0, v[14:15], 0x1f8
	v_and_b32_e32 v2, 1, v27
	v_lshlrev_b32_e32 v4, 30, v27
	s_mov_b32 s38, 0
	v_cmp_eq_u32_e32 vcc_lo, 0, v2
	v_and_b32_e32 v4, 0x80000000, v4
	v_mul_f64 v[12:13], v[10:11], 0.5
	v_mul_f64 v[39:40], v[32:33], -v[10:11]
	v_add_f64 v[18:19], -v[12:13], 1.0
	v_add_f64 v[30:31], -v[18:19], 1.0
	v_add_f64 v[12:13], v[30:31], -v[12:13]
	v_fma_f64 v[30:31], v[10:11], s[28:29], s[26:27]
	v_fma_f64 v[12:13], v[32:33], -v[34:35], v[12:13]
	v_fma_f64 v[30:31], v[10:11], v[30:31], s[30:31]
	v_fma_f64 v[30:31], v[10:11], v[30:31], s[34:35]
	;; [unrolled: 1-line block ×4, first 2 shown]
	v_fma_f64 v[30:31], v[10:11], v[30:31], -v[34:35]
	v_fma_f64 v[34:35], v[10:11], s[14:15], s[12:13]
	v_fma_f64 v[34:35], v[10:11], v[34:35], s[18:19]
	;; [unrolled: 1-line block ×5, first 2 shown]
	v_mul_f64 v[10:11], v[10:11], v[10:11]
	v_fma_f64 v[10:11], v[10:11], v[34:35], v[12:13]
	v_mul_f64 v[12:13], v[0:1], v[0:1]
	v_add_f64 v[10:11], v[18:19], v[10:11]
	v_mul_f64 v[34:35], v[12:13], 0.5
	v_mul_f64 v[45:46], v[0:1], -v[12:13]
	v_add_f64 v[37:38], -v[34:35], 1.0
	v_add_f64 v[41:42], -v[37:38], 1.0
	v_add_f64 v[34:35], v[41:42], -v[34:35]
	v_fma_f64 v[41:42], v[12:13], s[28:29], s[26:27]
	v_fma_f64 v[34:35], v[0:1], -v[6:7], v[34:35]
	v_fma_f64 v[41:42], v[12:13], v[41:42], s[30:31]
	v_fma_f64 v[41:42], v[12:13], v[41:42], s[34:35]
	;; [unrolled: 1-line block ×4, first 2 shown]
	v_fma_f64 v[41:42], v[12:13], v[41:42], -v[6:7]
	v_fma_f64 v[6:7], v[12:13], s[14:15], s[12:13]
	v_fma_f64 v[41:42], v[45:46], s[4:5], v[41:42]
	v_fma_f64 v[6:7], v[12:13], v[6:7], s[18:19]
	v_add_f64 v[0:1], v[0:1], -v[41:42]
	v_fma_f64 v[6:7], v[12:13], v[6:7], s[20:21]
	v_fma_f64 v[6:7], v[12:13], v[6:7], s[22:23]
	;; [unrolled: 1-line block ×3, first 2 shown]
	v_mul_f64 v[12:13], v[12:13], v[12:13]
	v_fma_f64 v[34:35], v[12:13], v[6:7], v[34:35]
	v_fma_f64 v[6:7], v[39:40], s[4:5], v[30:31]
	v_add_f64 v[34:35], v[37:38], v[34:35]
	v_add_f64 v[6:7], v[32:33], -v[6:7]
	v_xor_b32_e32 v2, 0x80000000, v7
	v_cndmask_b32_e32 v3, v6, v10, vcc_lo
	v_cndmask_b32_e32 v2, v2, v11, vcc_lo
	v_cndmask_b32_e64 v12, 0, v3, s0
	v_add_f64 v[10:11], v[69:70], v[69:70]
	v_xor_b32_e32 v2, v2, v4
	v_cndmask_b32_e64 v13, 0x7ff80000, v2, s0
	v_and_b32_e32 v2, 1, v36
	v_mul_f64 v[6:7], v[12:13], v[12:13]
	v_mul_f64 v[18:19], v[8:9], v[6:7]
	v_fma_f64 v[6:7], v[69:70], v[69:70], -v[10:11]
	v_fma_f64 v[18:19], v[69:70], v[69:70], v[18:19]
	v_add_f64 v[6:7], v[8:9], v[6:7]
	v_mul_f64 v[30:31], v[6:7], v[18:19]
	v_mul_f64 v[6:7], v[6:7], -v[65:66]
	v_div_scale_f64 v[32:33], null, v[30:31], v[30:31], 1.0
	v_rcp_f64_e32 v[39:40], v[32:33]
	v_fma_f64 v[43:44], -v[32:33], v[39:40], 1.0
	v_fma_f64 v[39:40], v[39:40], v[43:44], v[39:40]
	v_fma_f64 v[43:44], -v[32:33], v[39:40], 1.0
	v_fma_f64 v[39:40], v[39:40], v[43:44], v[39:40]
	v_div_scale_f64 v[43:44], vcc_lo, 1.0, v[30:31], 1.0
	v_mul_f64 v[47:48], v[43:44], v[39:40]
	v_fma_f64 v[32:33], -v[32:33], v[47:48], v[43:44]
	v_div_fmas_f64 v[32:33], v[32:33], v[39:40], v[47:48]
	v_div_scale_f64 v[39:40], null, v[18:19], v[18:19], 1.0
	v_rcp_f64_e32 v[43:44], v[39:40]
	v_fma_f64 v[47:48], -v[39:40], v[43:44], 1.0
	v_fma_f64 v[43:44], v[43:44], v[47:48], v[43:44]
	v_fma_f64 v[47:48], -v[39:40], v[43:44], 1.0
	v_fma_f64 v[43:44], v[43:44], v[47:48], v[43:44]
	v_div_scale_f64 v[47:48], vcc_lo, 1.0, v[18:19], 1.0
	v_mul_f64 v[49:50], v[47:48], v[43:44]
	v_fma_f64 v[39:40], -v[39:40], v[49:50], v[47:48]
	v_div_fmas_f64 v[39:40], v[39:40], v[43:44], v[49:50]
	v_cmp_eq_u32_e32 vcc_lo, 0, v2
	v_lshlrev_b32_e32 v2, 30, v36
	v_fma_f64 v[36:37], v[69:70], -2.0, v[18:19]
	v_cndmask_b32_e32 v1, v35, v1, vcc_lo
	v_xor_b32_e32 v2, v2, v15
	v_cndmask_b32_e32 v0, v34, v0, vcc_lo
	v_and_b32_e32 v2, 0x80000000, v2
	v_cndmask_b32_e64 v0, 0, v0, s0
	v_xor_b32_e32 v1, v1, v2
	s_clause 0x3
	buffer_load_dword v2, off, s[100:103], 0 offset:32
	buffer_load_dword v3, off, s[100:103], 0 offset:36
	;; [unrolled: 1-line block ×4, first 2 shown]
	v_cndmask_b32_e64 v1, 0x7ff80000, v1, s0
	v_div_fixup_f64 v[18:19], v[39:40], v[18:19], 1.0
	v_add_f64 v[38:39], v[65:66], v[65:66]
	v_mul_f64 v[34:35], v[0:1], v[0:1]
	v_cmp_gt_f64_e64 s0, s[40:41], v[0:1]
	v_mul_f64 v[38:39], v[65:66], v[38:39]
	v_cndmask_b32_e64 v35, v35, 0x3c9cd2b2, s0
	v_cndmask_b32_e64 v34, v34, 0x97d889bc, s0
	;; [unrolled: 1-line block ×4, first 2 shown]
	s_mov_b32 s0, 0xd2f1a9fc
	s_mov_b32 s1, 0x3f50624d
	v_mul_f64 v[0:1], -v[0:1], v[12:13]
	v_div_fixup_f64 v[12:13], v[32:33], v[30:31], 1.0
	s_waitcnt vmcnt(2)
	v_mul_f64 v[36:37], v[2:3], v[36:37]
	v_div_scale_f64 v[41:42], null, v[34:35], v[34:35], v[36:37]
	v_rcp_f64_e32 v[43:44], v[41:42]
	v_fma_f64 v[45:46], -v[41:42], v[43:44], 1.0
	v_fma_f64 v[43:44], v[43:44], v[45:46], v[43:44]
	v_fma_f64 v[45:46], -v[41:42], v[43:44], 1.0
	v_fma_f64 v[43:44], v[43:44], v[45:46], v[43:44]
	v_div_scale_f64 v[45:46], vcc_lo, v[36:37], v[34:35], v[36:37]
	v_mul_f64 v[47:48], v[45:46], v[43:44]
	v_fma_f64 v[41:42], -v[41:42], v[47:48], v[45:46]
	v_div_fmas_f64 v[41:42], v[41:42], v[43:44], v[47:48]
	v_mul_f64 v[43:44], v[34:35], v[34:35]
	v_div_fixup_f64 v[34:35], v[41:42], v[34:35], v[36:37]
	v_div_scale_f64 v[45:46], null, v[43:44], v[43:44], v[121:122]
	v_fma_f64 v[36:37], v[69:70], v[69:70], v[8:9]
	v_add_f64 v[40:41], v[69:70], -1.0
	v_rcp_f64_e32 v[47:48], v[45:46]
	v_mul_f64 v[36:37], v[10:11], v[36:37]
	v_mul_f64 v[38:39], v[40:41], v[38:39]
	s_waitcnt vmcnt(0)
	v_fma_f64 v[40:41], -v[4:5], v[40:41], v[36:37]
	v_fma_f64 v[49:50], -v[45:46], v[47:48], 1.0
	v_mul_f64 v[4:5], v[6:7], v[18:19]
	v_fma_f64 v[47:48], v[47:48], v[49:50], v[47:48]
	v_fma_f64 v[49:50], -v[45:46], v[47:48], 1.0
	v_fma_f64 v[47:48], v[47:48], v[49:50], v[47:48]
	v_div_scale_f64 v[49:50], vcc_lo, v[121:122], v[43:44], v[121:122]
	v_mul_f64 v[51:52], v[49:50], v[47:48]
	v_fma_f64 v[45:46], -v[45:46], v[51:52], v[49:50]
	v_div_fmas_f64 v[45:46], v[45:46], v[47:48], v[51:52]
	v_mul_f64 v[47:48], s[8:9], v[10:11]
	v_fma_f64 v[10:11], s[8:9], v[10:11], v[34:35]
	v_mul_f64 v[34:35], v[38:39], v[18:19]
	v_div_fixup_f64 v[30:31], v[45:46], v[43:44], v[121:122]
	v_fma_f64 v[36:37], -v[2:3], v[47:48], v[36:37]
	s_clause 0x1
	buffer_load_dword v2, off, s[100:103], 0 offset:16
	buffer_load_dword v3, off, s[100:103], 0 offset:20
	s_waitcnt vmcnt(0)
	v_add_f64 v[32:33], v[40:41], -v[2:3]
	v_fma_f64 v[2:3], v[36:37], v[12:13], 1.0
	v_fma_f64 v[16:17], v[32:33], v[12:13], -v[34:35]
	s_clause 0x1
	buffer_load_dword v34, off, s[100:103], 0 offset:136
	buffer_load_dword v35, off, s[100:103], 0 offset:140
	buffer_store_dword v2, off, s[100:103], 0 offset:48 ; 4-byte Folded Spill
	buffer_store_dword v3, off, s[100:103], 0 offset:52 ; 4-byte Folded Spill
	v_mul_f64 v[12:13], v[12:13], -v[10:11]
	v_add_f64 v[10:11], v[30:31], -v[8:9]
	v_mul_f64 v[0:1], v[10:11], v[0:1]
	v_mul_f64 v[10:11], v[18:19], -v[116:117]
	v_mul_f64 v[20:21], v[0:1], v[18:19]
	s_waitcnt vmcnt(0)
	v_mul_f64 v[0:1], v[34:35], -v[2:3]
	s_clause 0x1
	buffer_load_dword v2, off, s[100:103], 0 offset:152
	buffer_load_dword v3, off, s[100:103], 0 offset:156
	buffer_store_dword v4, off, s[100:103], 0 offset:24 ; 4-byte Folded Spill
	buffer_store_dword v5, off, s[100:103], 0 offset:28 ; 4-byte Folded Spill
	;; [unrolled: 1-line block ×6, first 2 shown]
	v_mul_f64 v[6:7], v[34:35], v[4:5]
	s_waitcnt vmcnt(0)
	v_add_f64 v[0:1], |v[2:3]|, |v[0:1]|
	s_clause 0x1
	buffer_load_dword v2, off, s[100:103], 0 offset:144
	buffer_load_dword v3, off, s[100:103], 0 offset:148
	buffer_store_dword v16, off, s[100:103], 0 offset:40 ; 4-byte Folded Spill
	buffer_store_dword v17, off, s[100:103], 0 offset:44 ; 4-byte Folded Spill
	;; [unrolled: 1-line block ×4, first 2 shown]
	v_mul_f64 v[12:13], v[34:35], v[12:13]
	v_mul_f64 v[10:11], v[34:35], v[10:11]
	v_add_f64 v[6:7], |v[69:70]|, |v[6:7]|
	v_add_f64 v[0:1], v[0:1], s[0:1]
	v_add_f64 v[10:11], |v[14:15]|, |v[10:11]|
	v_mul_f64 v[18:19], v[34:35], -v[16:17]
	s_waitcnt vmcnt(0)
	v_add_f64 v[12:13], |v[2:3]|, |v[12:13]|
	v_add_f64 v[2:3], v[6:7], s[0:1]
	buffer_store_dword v2, off, s[100:103], 0 offset:80 ; 4-byte Folded Spill
	buffer_store_dword v3, off, s[100:103], 0 offset:84 ; 4-byte Folded Spill
	v_add_f64 v[2:3], v[10:11], s[0:1]
	buffer_store_dword v2, off, s[100:103], 0 offset:88 ; 4-byte Folded Spill
	buffer_store_dword v3, off, s[100:103], 0 offset:92 ; 4-byte Folded Spill
	v_add_f64 v[2:3], v[12:13], s[0:1]
	v_add_f64 v[18:19], |v[65:66]|, |v[18:19]|
	v_mul_f64 v[30:31], v[34:35], v[20:21]
	buffer_store_dword v2, off, s[100:103], 0 offset:96 ; 4-byte Folded Spill
	buffer_store_dword v3, off, s[100:103], 0 offset:100 ; 4-byte Folded Spill
	buffer_store_dword v0, off, s[100:103], 0 offset:104 ; 4-byte Folded Spill
	buffer_store_dword v1, off, s[100:103], 0 offset:108 ; 4-byte Folded Spill
	v_add_f64 v[0:1], v[18:19], s[0:1]
	v_add_f64 v[30:31], |v[116:117]|, |v[30:31]|
	buffer_store_dword v0, off, s[100:103], 0 offset:112 ; 4-byte Folded Spill
	buffer_store_dword v1, off, s[100:103], 0 offset:116 ; 4-byte Folded Spill
	v_add_f64 v[0:1], v[30:31], s[0:1]
	buffer_store_dword v0, off, s[100:103], 0 offset:120 ; 4-byte Folded Spill
	buffer_store_dword v1, off, s[100:103], 0 offset:124 ; 4-byte Folded Spill
	s_branch .LBB1_93
.LBB1_90:                               ;   in Loop: Header=BB1_93 Depth=3
	s_or_b32 exec_lo, exec_lo, s4
.LBB1_91:                               ;   in Loop: Header=BB1_93 Depth=3
	s_or_b32 exec_lo, exec_lo, s1
	s_xor_b32 s1, exec_lo, -1
.LBB1_92:                               ;   in Loop: Header=BB1_93 Depth=3
	s_or_b32 exec_lo, exec_lo, s0
	s_and_b32 s0, exec_lo, s1
	s_or_b32 s38, s0, s38
	s_andn2_b32 exec_lo, exec_lo, s38
	s_cbranch_execz .LBB1_141
.LBB1_93:                               ;   Parent Loop BB1_79 Depth=1
                                        ;     Parent Loop BB1_81 Depth=2
                                        ; =>    This Inner Loop Header: Depth=3
	s_clause 0x1
	buffer_load_dword v0, off, s[100:103], 0 offset:72
	buffer_load_dword v1, off, s[100:103], 0 offset:76
	v_mov_b32_e32 v51, v35
	v_mov_b32_e32 v50, v34
                                        ; implicit-def: $vgpr39
                                        ; implicit-def: $vgpr6_vgpr7
	s_waitcnt vmcnt(0)
	v_mul_f64 v[48:49], v[0:1], v[50:51]
	s_clause 0x1
	buffer_load_dword v0, off, s[100:103], 0
	buffer_load_dword v1, off, s[100:103], 0 offset:4
	s_waitcnt vmcnt(0)
	v_fma_f64 v[77:78], v[48:49], s[44:45], v[0:1]
                                        ; implicit-def: $vgpr0_vgpr1
	v_cmp_ngt_f64_e64 s0, 0x41d00000, |v[77:78]|
	v_trig_preop_f64 v[18:19], |v[77:78]|, 0
	v_trig_preop_f64 v[12:13], |v[77:78]|, 1
	v_ldexp_f64 v[30:31], |v[77:78]|, 0xffffff80
	v_trig_preop_f64 v[10:11], |v[77:78]|, 2
	v_and_b32_e32 v36, 0x7fffffff, v78
	s_and_saveexec_b32 s1, s0
	s_xor_b32 s1, exec_lo, s1
	s_cbranch_execz .LBB1_95
; %bb.94:                               ;   in Loop: Header=BB1_93 Depth=3
	v_cmp_le_f64_e64 vcc_lo, 0x7b000000, |v[77:78]|
	s_mov_b32 s92, s94
	s_mov_b32 s99, s97
	v_cndmask_b32_e32 v1, v36, v31, vcc_lo
	v_cndmask_b32_e32 v0, v77, v30, vcc_lo
	v_mul_f64 v[6:7], v[18:19], v[0:1]
	v_mul_f64 v[32:33], v[12:13], v[0:1]
	v_fma_f64 v[34:35], v[18:19], v[0:1], -v[6:7]
	v_add_f64 v[37:38], v[32:33], v[34:35]
	v_add_f64 v[39:40], v[37:38], -v[32:33]
	v_add_f64 v[34:35], v[34:35], -v[39:40]
	;; [unrolled: 1-line block ×4, first 2 shown]
	v_fma_f64 v[32:33], v[12:13], v[0:1], -v[32:33]
	v_add_f64 v[34:35], v[34:35], v[39:40]
	v_mul_f64 v[39:40], v[10:11], v[0:1]
	v_add_f64 v[41:42], v[39:40], v[32:33]
	v_fma_f64 v[0:1], v[10:11], v[0:1], -v[39:40]
	v_add_f64 v[43:44], v[41:42], -v[39:40]
	v_add_f64 v[32:33], v[32:33], -v[43:44]
	;; [unrolled: 1-line block ×4, first 2 shown]
	v_add_f64 v[32:33], v[32:33], v[43:44]
	v_add_f64 v[43:44], v[41:42], v[34:35]
	v_add_f64 v[45:46], v[43:44], -v[41:42]
	v_add_f64 v[34:35], v[34:35], -v[45:46]
	;; [unrolled: 1-line block ×4, first 2 shown]
	v_add_f64 v[45:46], v[6:7], v[37:38]
	v_add_f64 v[34:35], v[34:35], v[41:42]
	v_add_f64 v[6:7], v[45:46], -v[6:7]
	v_ldexp_f64 v[45:46], v[45:46], -2
	v_add_f64 v[32:33], v[32:33], v[34:35]
	v_add_f64 v[6:7], v[37:38], -v[6:7]
	v_fract_f64_e32 v[52:53], v[45:46]
	v_cmp_neq_f64_e64 vcc_lo, 0x7ff00000, |v[45:46]|
	v_add_f64 v[0:1], v[0:1], v[32:33]
	v_add_f64 v[34:35], v[6:7], v[43:44]
	v_ldexp_f64 v[52:53], v[52:53], 2
	v_add_f64 v[6:7], v[34:35], -v[6:7]
	v_cndmask_b32_e32 v38, 0, v53, vcc_lo
	v_cndmask_b32_e32 v37, 0, v52, vcc_lo
	v_add_f64 v[32:33], v[34:35], v[37:38]
	v_add_f64 v[6:7], v[43:44], -v[6:7]
	v_cmp_gt_f64_e32 vcc_lo, 0, v[32:33]
	v_add_f64 v[0:1], v[6:7], v[0:1]
	v_cndmask_b32_e64 v27, 0, 0x40100000, vcc_lo
	v_add_f64 v[32:33], v[37:38], v[26:27]
	v_add_f64 v[37:38], v[34:35], v[32:33]
	v_cvt_i32_f64_e32 v2, v[37:38]
	v_cvt_f64_i32_e32 v[37:38], v2
	v_add_f64 v[32:33], v[32:33], -v[37:38]
	v_add_f64 v[6:7], v[34:35], v[32:33]
	v_add_f64 v[32:33], v[6:7], -v[32:33]
	v_cmp_le_f64_e32 vcc_lo, 0.5, v[6:7]
	v_add_f64 v[32:33], v[34:35], -v[32:33]
	v_cndmask_b32_e64 v27, 0, 0x3ff00000, vcc_lo
	v_add_co_ci_u32_e64 v39, null, 0, v2, vcc_lo
	v_add_f64 v[6:7], v[6:7], -v[26:27]
	v_add_f64 v[0:1], v[0:1], v[32:33]
	v_add_f64 v[32:33], v[6:7], v[0:1]
	v_add_f64 v[6:7], v[32:33], -v[6:7]
	v_add_f64 v[0:1], v[0:1], -v[6:7]
	v_mul_f64 v[6:7], v[32:33], s[92:93]
	v_fma_f64 v[34:35], v[32:33], s[92:93], -v[6:7]
	v_fma_f64 v[32:33], v[32:33], s[98:99], v[34:35]
	v_fma_f64 v[32:33], v[0:1], s[92:93], v[32:33]
	v_add_f64 v[0:1], v[6:7], v[32:33]
	v_add_f64 v[6:7], v[0:1], -v[6:7]
	v_add_f64 v[6:7], v[32:33], -v[6:7]
	s_andn2_saveexec_b32 s1, s1
	s_cbranch_execz .LBB1_97
	s_branch .LBB1_96
.LBB1_95:                               ;   in Loop: Header=BB1_93 Depth=3
	s_andn2_saveexec_b32 s1, s1
	s_cbranch_execz .LBB1_97
.LBB1_96:                               ;   in Loop: Header=BB1_93 Depth=3
	v_mul_f64 v[0:1], |v[77:78]|, s[6:7]
	s_mov_b32 s96, s16
	v_rndne_f64_e32 v[32:33], v[0:1]
	v_fma_f64 v[0:1], v[32:33], s[94:95], |v[77:78]|
	v_mul_f64 v[6:7], v[32:33], s[16:17]
	v_cvt_i32_f64_e32 v39, v[32:33]
	v_fma_f64 v[37:38], v[32:33], s[16:17], v[0:1]
	v_add_f64 v[34:35], v[0:1], v[6:7]
	v_add_f64 v[0:1], v[0:1], -v[34:35]
	v_add_f64 v[34:35], v[34:35], -v[37:38]
	v_add_f64 v[0:1], v[0:1], v[6:7]
	v_fma_f64 v[6:7], v[32:33], s[96:97], v[6:7]
	v_add_f64 v[0:1], v[34:35], v[0:1]
	v_add_f64 v[0:1], v[0:1], -v[6:7]
	v_fma_f64 v[6:7], v[32:33], s[10:11], v[0:1]
	v_add_f64 v[0:1], v[37:38], v[6:7]
	v_add_f64 v[34:35], v[0:1], -v[37:38]
	v_add_f64 v[6:7], v[6:7], -v[34:35]
.LBB1_97:                               ;   in Loop: Header=BB1_93 Depth=3
	s_or_b32 exec_lo, exec_lo, s1
                                        ; implicit-def: $vgpr37
                                        ; implicit-def: $vgpr32_vgpr33
                                        ; implicit-def: $vgpr34_vgpr35
	s_and_saveexec_b32 s1, s0
	s_xor_b32 s0, exec_lo, s1
	s_cbranch_execz .LBB1_99
; %bb.98:                               ;   in Loop: Header=BB1_93 Depth=3
	v_cmp_le_f64_e64 vcc_lo, 0x7b000000, |v[77:78]|
	s_mov_b32 s92, s94
	s_mov_b32 s99, s97
	v_cndmask_b32_e32 v31, v36, v31, vcc_lo
	v_cndmask_b32_e32 v30, v77, v30, vcc_lo
	v_mul_f64 v[32:33], v[18:19], v[30:31]
	v_mul_f64 v[34:35], v[12:13], v[30:31]
	;; [unrolled: 1-line block ×3, first 2 shown]
	v_fma_f64 v[18:19], v[18:19], v[30:31], -v[32:33]
	v_fma_f64 v[12:13], v[12:13], v[30:31], -v[34:35]
	;; [unrolled: 1-line block ×3, first 2 shown]
	v_add_f64 v[30:31], v[34:35], v[18:19]
	v_add_f64 v[40:41], v[30:31], -v[34:35]
	v_add_f64 v[18:19], v[18:19], -v[40:41]
	;; [unrolled: 1-line block ×4, first 2 shown]
	v_add_f64 v[40:41], v[36:37], v[12:13]
	v_add_f64 v[18:19], v[18:19], v[34:35]
	v_add_f64 v[42:43], v[40:41], -v[36:37]
	v_add_f64 v[34:35], v[40:41], v[18:19]
	v_add_f64 v[12:13], v[12:13], -v[42:43]
	v_add_f64 v[42:43], v[40:41], -v[42:43]
	;; [unrolled: 1-line block ×3, first 2 shown]
	v_add_f64 v[12:13], v[12:13], v[36:37]
	v_add_f64 v[36:37], v[34:35], -v[40:41]
	v_add_f64 v[18:19], v[18:19], -v[36:37]
	;; [unrolled: 1-line block ×4, first 2 shown]
	v_add_f64 v[40:41], v[32:33], v[30:31]
	v_add_f64 v[18:19], v[18:19], v[36:37]
	v_add_f64 v[32:33], v[40:41], -v[32:33]
	v_ldexp_f64 v[40:41], v[40:41], -2
	v_add_f64 v[12:13], v[12:13], v[18:19]
	v_add_f64 v[30:31], v[30:31], -v[32:33]
	v_fract_f64_e32 v[42:43], v[40:41]
	v_cmp_neq_f64_e64 vcc_lo, 0x7ff00000, |v[40:41]|
	v_add_f64 v[10:11], v[10:11], v[12:13]
	v_add_f64 v[18:19], v[30:31], v[34:35]
	v_ldexp_f64 v[42:43], v[42:43], 2
	v_add_f64 v[30:31], v[18:19], -v[30:31]
	v_cndmask_b32_e32 v33, 0, v43, vcc_lo
	v_cndmask_b32_e32 v32, 0, v42, vcc_lo
	v_add_f64 v[12:13], v[18:19], v[32:33]
	v_add_f64 v[30:31], v[34:35], -v[30:31]
	v_cmp_gt_f64_e32 vcc_lo, 0, v[12:13]
	v_add_f64 v[10:11], v[30:31], v[10:11]
	v_cndmask_b32_e64 v27, 0, 0x40100000, vcc_lo
	v_add_f64 v[12:13], v[32:33], v[26:27]
	v_add_f64 v[32:33], v[18:19], v[12:13]
	v_cvt_i32_f64_e32 v2, v[32:33]
	v_cvt_f64_i32_e32 v[32:33], v2
	v_add_f64 v[12:13], v[12:13], -v[32:33]
	v_add_f64 v[30:31], v[18:19], v[12:13]
	v_add_f64 v[12:13], v[30:31], -v[12:13]
	v_cmp_le_f64_e32 vcc_lo, 0.5, v[30:31]
	v_add_f64 v[12:13], v[18:19], -v[12:13]
	v_cndmask_b32_e64 v27, 0, 0x3ff00000, vcc_lo
	v_add_co_ci_u32_e64 v37, null, 0, v2, vcc_lo
	v_add_f64 v[18:19], v[30:31], -v[26:27]
	v_add_f64 v[10:11], v[10:11], v[12:13]
	v_add_f64 v[12:13], v[18:19], v[10:11]
	v_add_f64 v[18:19], v[12:13], -v[18:19]
	v_add_f64 v[10:11], v[10:11], -v[18:19]
	v_mul_f64 v[18:19], v[12:13], s[92:93]
	v_fma_f64 v[30:31], v[12:13], s[92:93], -v[18:19]
	v_fma_f64 v[12:13], v[12:13], s[98:99], v[30:31]
	v_fma_f64 v[10:11], v[10:11], s[92:93], v[12:13]
	v_add_f64 v[32:33], v[18:19], v[10:11]
	v_add_f64 v[12:13], v[32:33], -v[18:19]
	v_add_f64 v[34:35], v[10:11], -v[12:13]
	s_andn2_saveexec_b32 s0, s0
	s_cbranch_execnz .LBB1_100
	s_branch .LBB1_101
.LBB1_99:                               ;   in Loop: Header=BB1_93 Depth=3
	s_andn2_saveexec_b32 s0, s0
	s_cbranch_execz .LBB1_101
.LBB1_100:                              ;   in Loop: Header=BB1_93 Depth=3
	v_mul_f64 v[10:11], |v[77:78]|, s[6:7]
	s_mov_b32 s96, s16
	v_rndne_f64_e32 v[10:11], v[10:11]
	v_fma_f64 v[12:13], v[10:11], s[94:95], |v[77:78]|
	v_mul_f64 v[18:19], v[10:11], s[16:17]
	v_cvt_i32_f64_e32 v37, v[10:11]
	v_fma_f64 v[34:35], v[10:11], s[16:17], v[12:13]
	v_add_f64 v[30:31], v[12:13], v[18:19]
	v_add_f64 v[12:13], v[12:13], -v[30:31]
	v_add_f64 v[30:31], v[30:31], -v[34:35]
	v_add_f64 v[12:13], v[12:13], v[18:19]
	v_fma_f64 v[18:19], v[10:11], s[96:97], v[18:19]
	v_add_f64 v[12:13], v[30:31], v[12:13]
	v_add_f64 v[12:13], v[12:13], -v[18:19]
	v_fma_f64 v[12:13], v[10:11], s[10:11], v[12:13]
	v_add_f64 v[32:33], v[34:35], v[12:13]
	v_add_f64 v[18:19], v[32:33], -v[34:35]
	v_add_f64 v[34:35], v[12:13], -v[18:19]
.LBB1_101:                              ;   in Loop: Header=BB1_93 Depth=3
	s_or_b32 exec_lo, exec_lo, s0
	v_mul_f64 v[10:11], v[32:33], v[32:33]
	v_mul_f64 v[40:41], v[34:35], 0.5
	s_mov_b32 s4, s24
	v_cmp_class_f64_e64 s0, v[77:78], 0x1f8
	v_and_b32_e32 v2, 1, v37
	v_lshlrev_b32_e32 v4, 30, v37
                                        ; implicit-def: $vgpr38
                                        ; implicit-def: $vgpr108_vgpr109
                                        ; implicit-def: $vgpr110_vgpr111
	v_cmp_eq_u32_e32 vcc_lo, 0, v2
	v_and_b32_e32 v4, 0x80000000, v4
	v_mul_f64 v[12:13], v[10:11], 0.5
	v_mul_f64 v[42:43], v[32:33], -v[10:11]
	v_add_f64 v[18:19], -v[12:13], 1.0
	v_add_f64 v[30:31], -v[18:19], 1.0
	v_add_f64 v[12:13], v[30:31], -v[12:13]
	v_fma_f64 v[30:31], v[10:11], s[28:29], s[26:27]
	v_fma_f64 v[12:13], v[32:33], -v[34:35], v[12:13]
	v_fma_f64 v[30:31], v[10:11], v[30:31], s[30:31]
	v_fma_f64 v[30:31], v[10:11], v[30:31], s[34:35]
	;; [unrolled: 1-line block ×4, first 2 shown]
	v_fma_f64 v[30:31], v[10:11], v[30:31], -v[34:35]
	v_fma_f64 v[34:35], v[10:11], s[14:15], s[12:13]
	v_fma_f64 v[34:35], v[10:11], v[34:35], s[18:19]
	;; [unrolled: 1-line block ×5, first 2 shown]
	v_mul_f64 v[10:11], v[10:11], v[10:11]
	v_fma_f64 v[10:11], v[10:11], v[34:35], v[12:13]
	v_fma_f64 v[12:13], v[42:43], s[4:5], v[30:31]
	v_add_f64 v[10:11], v[18:19], v[10:11]
	v_add_f64 v[12:13], v[32:33], -v[12:13]
	v_xor_b32_e32 v2, 0x80000000, v13
	v_cndmask_b32_e32 v3, v12, v10, vcc_lo
	v_cndmask_b32_e32 v2, v2, v11, vcc_lo
	v_cndmask_b32_e64 v10, 0, v3, s0
	v_xor_b32_e32 v2, v2, v4
	v_cndmask_b32_e64 v11, 0x7ff80000, v2, s0
	s_clause 0x1
	buffer_load_dword v2, off, s[100:103], 0 offset:24
	buffer_load_dword v3, off, s[100:103], 0 offset:28
	v_mul_f64 v[12:13], v[10:11], v[10:11]
	s_waitcnt vmcnt(0)
	v_mul_f64 v[76:77], v[2:3], v[50:51]
	s_clause 0x1
	buffer_load_dword v2, off, s[100:103], 0 offset:64
	buffer_load_dword v3, off, s[100:103], 0 offset:68
	v_fma_f64 v[83:84], v[76:77], s[44:45], v[69:70]
	v_mul_f64 v[100:101], v[83:84], v[83:84]
	v_fma_f64 v[106:107], v[8:9], v[12:13], v[100:101]
	v_div_scale_f64 v[12:13], null, v[106:107], v[106:107], 1.0
	v_rcp_f64_e32 v[18:19], v[12:13]
	v_fma_f64 v[30:31], -v[12:13], v[18:19], 1.0
	v_fma_f64 v[18:19], v[18:19], v[30:31], v[18:19]
	v_fma_f64 v[30:31], -v[12:13], v[18:19], 1.0
	v_fma_f64 v[18:19], v[18:19], v[30:31], v[18:19]
	v_div_scale_f64 v[30:31], vcc_lo, 1.0, v[106:107], 1.0
	v_mul_f64 v[32:33], v[30:31], v[18:19]
	v_fma_f64 v[12:13], -v[12:13], v[32:33], v[30:31]
	v_div_fmas_f64 v[12:13], v[12:13], v[18:19], v[32:33]
	v_div_fixup_f64 v[85:86], v[12:13], v[106:107], 1.0
	s_waitcnt vmcnt(0)
	v_mul_f64 v[74:75], v[2:3], v[50:51]
	s_clause 0x1
	buffer_load_dword v2, off, s[100:103], 0
	buffer_load_dword v3, off, s[100:103], 0 offset:4
	v_fma_f64 v[12:13], v[74:75], s[44:45], v[116:117]
	v_mul_f64 v[12:13], v[85:86], -v[12:13]
	v_mul_f64 v[88:89], v[50:51], v[12:13]
	s_waitcnt vmcnt(0)
	v_fma_f64 v[12:13], v[48:49], s[52:53], v[2:3]
	v_fma_f64 v[81:82], v[88:89], s[50:51], v[12:13]
	v_cmp_ngt_f64_e64 s1, 0x41d00000, |v[81:82]|
	v_trig_preop_f64 v[34:35], |v[81:82]|, 0
	v_trig_preop_f64 v[30:31], |v[81:82]|, 1
	v_ldexp_f64 v[36:37], |v[81:82]|, 0xffffff80
	v_trig_preop_f64 v[32:33], |v[81:82]|, 2
	v_and_b32_e32 v40, 0x7fffffff, v82
	s_and_saveexec_b32 s4, s1
	s_xor_b32 s4, exec_lo, s4
	s_cbranch_execz .LBB1_103
; %bb.102:                              ;   in Loop: Header=BB1_93 Depth=3
	v_cmp_le_f64_e64 vcc_lo, 0x7b000000, |v[81:82]|
	s_mov_b32 s92, s94
	s_mov_b32 s99, s97
	v_cndmask_b32_e32 v13, v40, v37, vcc_lo
	v_cndmask_b32_e32 v12, v81, v36, vcc_lo
	v_mul_f64 v[18:19], v[34:35], v[12:13]
	v_mul_f64 v[41:42], v[30:31], v[12:13]
	;; [unrolled: 1-line block ×3, first 2 shown]
	v_fma_f64 v[43:44], v[34:35], v[12:13], -v[18:19]
	v_add_f64 v[45:46], v[41:42], v[43:44]
	v_add_f64 v[52:53], v[45:46], -v[41:42]
	v_add_f64 v[43:44], v[43:44], -v[52:53]
	v_add_f64 v[52:53], v[45:46], -v[52:53]
	v_add_f64 v[52:53], v[41:42], -v[52:53]
	v_fma_f64 v[41:42], v[30:31], v[12:13], -v[41:42]
	v_fma_f64 v[12:13], v[32:33], v[12:13], -v[54:55]
	v_add_f64 v[43:44], v[43:44], v[52:53]
	v_add_f64 v[56:57], v[54:55], v[41:42]
	;; [unrolled: 1-line block ×3, first 2 shown]
	v_add_f64 v[58:59], v[56:57], -v[54:55]
	v_add_f64 v[18:19], v[52:53], -v[18:19]
	v_ldexp_f64 v[52:53], v[52:53], -2
	v_add_f64 v[41:42], v[41:42], -v[58:59]
	v_add_f64 v[58:59], v[56:57], -v[58:59]
	;; [unrolled: 1-line block ×3, first 2 shown]
	v_add_f64 v[45:46], v[56:57], v[43:44]
	v_cmp_neq_f64_e64 vcc_lo, 0x7ff00000, |v[52:53]|
	v_fract_f64_e32 v[52:53], v[52:53]
	v_add_f64 v[54:55], v[54:55], -v[58:59]
	v_ldexp_f64 v[52:53], v[52:53], 2
	v_add_f64 v[41:42], v[41:42], v[54:55]
	v_add_f64 v[54:55], v[45:46], -v[56:57]
	v_cndmask_b32_e32 v53, 0, v53, vcc_lo
	v_cndmask_b32_e32 v52, 0, v52, vcc_lo
	v_add_f64 v[43:44], v[43:44], -v[54:55]
	v_add_f64 v[54:55], v[45:46], -v[54:55]
	;; [unrolled: 1-line block ×3, first 2 shown]
	v_add_f64 v[43:44], v[43:44], v[54:55]
	v_add_f64 v[54:55], v[18:19], v[45:46]
	;; [unrolled: 1-line block ×4, first 2 shown]
	v_add_f64 v[18:19], v[54:55], -v[18:19]
	v_add_f64 v[12:13], v[12:13], v[41:42]
	v_cmp_gt_f64_e32 vcc_lo, 0, v[56:57]
	v_add_f64 v[18:19], v[45:46], -v[18:19]
	v_cndmask_b32_e64 v27, 0, 0x40100000, vcc_lo
	v_add_f64 v[12:13], v[18:19], v[12:13]
	v_add_f64 v[41:42], v[52:53], v[26:27]
	;; [unrolled: 1-line block ×3, first 2 shown]
	v_cvt_i32_f64_e32 v2, v[43:44]
	v_cvt_f64_i32_e32 v[43:44], v2
	v_add_f64 v[41:42], v[41:42], -v[43:44]
	v_add_f64 v[18:19], v[54:55], v[41:42]
	v_add_f64 v[41:42], v[18:19], -v[41:42]
	v_cmp_le_f64_e32 vcc_lo, 0.5, v[18:19]
	v_add_f64 v[41:42], v[54:55], -v[41:42]
	v_cndmask_b32_e64 v27, 0, 0x3ff00000, vcc_lo
	v_add_co_ci_u32_e64 v38, null, 0, v2, vcc_lo
	v_add_f64 v[18:19], v[18:19], -v[26:27]
	v_add_f64 v[12:13], v[12:13], v[41:42]
	v_add_f64 v[41:42], v[18:19], v[12:13]
	v_add_f64 v[18:19], v[41:42], -v[18:19]
	v_add_f64 v[12:13], v[12:13], -v[18:19]
	v_mul_f64 v[18:19], v[41:42], s[92:93]
	v_fma_f64 v[43:44], v[41:42], s[92:93], -v[18:19]
	v_fma_f64 v[41:42], v[41:42], s[98:99], v[43:44]
	v_fma_f64 v[12:13], v[12:13], s[92:93], v[41:42]
	v_add_f64 v[108:109], v[18:19], v[12:13]
	v_add_f64 v[18:19], v[108:109], -v[18:19]
	v_add_f64 v[110:111], v[12:13], -v[18:19]
	s_andn2_saveexec_b32 s4, s4
	s_cbranch_execz .LBB1_105
	s_branch .LBB1_104
.LBB1_103:                              ;   in Loop: Header=BB1_93 Depth=3
	s_andn2_saveexec_b32 s4, s4
	s_cbranch_execz .LBB1_105
.LBB1_104:                              ;   in Loop: Header=BB1_93 Depth=3
	v_mul_f64 v[12:13], |v[81:82]|, s[6:7]
	s_mov_b32 s96, s16
	v_rndne_f64_e32 v[12:13], v[12:13]
	v_fma_f64 v[18:19], v[12:13], s[94:95], |v[81:82]|
	v_mul_f64 v[41:42], v[12:13], s[16:17]
	v_cvt_i32_f64_e32 v38, v[12:13]
	v_fma_f64 v[45:46], v[12:13], s[16:17], v[18:19]
	v_add_f64 v[43:44], v[18:19], v[41:42]
	v_add_f64 v[18:19], v[18:19], -v[43:44]
	v_add_f64 v[43:44], v[43:44], -v[45:46]
	v_add_f64 v[18:19], v[18:19], v[41:42]
	v_fma_f64 v[41:42], v[12:13], s[96:97], v[41:42]
	v_add_f64 v[18:19], v[43:44], v[18:19]
	v_add_f64 v[18:19], v[18:19], -v[41:42]
	v_fma_f64 v[18:19], v[12:13], s[10:11], v[18:19]
	v_add_f64 v[108:109], v[45:46], v[18:19]
	v_add_f64 v[41:42], v[108:109], -v[45:46]
	v_add_f64 v[110:111], v[18:19], -v[41:42]
.LBB1_105:                              ;   in Loop: Header=BB1_93 Depth=3
	s_or_b32 exec_lo, exec_lo, s4
                                        ; implicit-def: $vgpr27
                                        ; implicit-def: $vgpr12_vgpr13
                                        ; implicit-def: $vgpr18_vgpr19
	s_and_saveexec_b32 s4, s1
	s_xor_b32 s1, exec_lo, s4
	s_cbranch_execz .LBB1_107
; %bb.106:                              ;   in Loop: Header=BB1_93 Depth=3
	v_cmp_le_f64_e64 vcc_lo, 0x7b000000, |v[81:82]|
	s_mov_b32 s92, s94
	s_mov_b32 s99, s97
	v_cndmask_b32_e32 v13, v40, v37, vcc_lo
	v_cndmask_b32_e32 v12, v81, v36, vcc_lo
	v_mul_f64 v[18:19], v[34:35], v[12:13]
	v_mul_f64 v[36:37], v[30:31], v[12:13]
	;; [unrolled: 1-line block ×3, first 2 shown]
	v_fma_f64 v[34:35], v[34:35], v[12:13], -v[18:19]
	v_fma_f64 v[30:31], v[30:31], v[12:13], -v[36:37]
	;; [unrolled: 1-line block ×3, first 2 shown]
	v_add_f64 v[42:43], v[36:37], v[34:35]
	v_add_f64 v[32:33], v[42:43], -v[36:37]
	v_add_f64 v[34:35], v[34:35], -v[32:33]
	;; [unrolled: 1-line block ×4, first 2 shown]
	v_add_f64 v[36:37], v[40:41], v[30:31]
	v_add_f64 v[32:33], v[34:35], v[32:33]
	;; [unrolled: 1-line block ×3, first 2 shown]
	v_add_f64 v[44:45], v[36:37], -v[40:41]
	v_add_f64 v[18:19], v[34:35], -v[18:19]
	v_ldexp_f64 v[34:35], v[34:35], -2
	v_add_f64 v[30:31], v[30:31], -v[44:45]
	v_add_f64 v[44:45], v[36:37], -v[44:45]
	v_add_f64 v[18:19], v[42:43], -v[18:19]
	v_cmp_neq_f64_e64 vcc_lo, 0x7ff00000, |v[34:35]|
	v_fract_f64_e32 v[34:35], v[34:35]
	v_add_f64 v[40:41], v[40:41], -v[44:45]
	v_add_f64 v[42:43], v[36:37], v[32:33]
	v_ldexp_f64 v[34:35], v[34:35], 2
	v_add_f64 v[30:31], v[30:31], v[40:41]
	v_add_f64 v[40:41], v[18:19], v[42:43]
	v_cndmask_b32_e32 v35, 0, v35, vcc_lo
	v_cndmask_b32_e32 v34, 0, v34, vcc_lo
	v_add_f64 v[18:19], v[40:41], -v[18:19]
	v_add_f64 v[44:45], v[40:41], v[34:35]
	v_add_f64 v[18:19], v[42:43], -v[18:19]
	v_cmp_gt_f64_e32 vcc_lo, 0, v[44:45]
	v_add_f64 v[44:45], v[42:43], -v[36:37]
	v_cndmask_b32_e64 v27, 0, 0x40100000, vcc_lo
	v_add_f64 v[32:33], v[32:33], -v[44:45]
	v_add_f64 v[44:45], v[42:43], -v[44:45]
	v_add_f64 v[34:35], v[34:35], v[26:27]
	v_add_f64 v[36:37], v[36:37], -v[44:45]
	v_add_f64 v[44:45], v[40:41], v[34:35]
	v_add_f64 v[32:33], v[32:33], v[36:37]
	v_cvt_i32_f64_e32 v2, v[44:45]
	v_add_f64 v[30:31], v[30:31], v[32:33]
	v_cvt_f64_i32_e32 v[36:37], v2
	v_add_f64 v[12:13], v[12:13], v[30:31]
	v_add_f64 v[34:35], v[34:35], -v[36:37]
	v_add_f64 v[12:13], v[18:19], v[12:13]
	v_add_f64 v[32:33], v[40:41], v[34:35]
	v_add_f64 v[30:31], v[32:33], -v[34:35]
	v_cmp_le_f64_e32 vcc_lo, 0.5, v[32:33]
	v_add_f64 v[18:19], v[40:41], -v[30:31]
	v_cndmask_b32_e64 v27, 0, 0x3ff00000, vcc_lo
	v_add_f64 v[12:13], v[12:13], v[18:19]
	v_add_f64 v[18:19], v[32:33], -v[26:27]
	v_add_co_ci_u32_e64 v27, null, 0, v2, vcc_lo
	v_add_f64 v[30:31], v[18:19], v[12:13]
	v_mul_f64 v[32:33], v[30:31], s[92:93]
	v_add_f64 v[18:19], v[30:31], -v[18:19]
	v_fma_f64 v[34:35], v[30:31], s[92:93], -v[32:33]
	v_add_f64 v[12:13], v[12:13], -v[18:19]
	v_fma_f64 v[18:19], v[30:31], s[98:99], v[34:35]
	v_fma_f64 v[18:19], v[12:13], s[92:93], v[18:19]
	v_add_f64 v[12:13], v[32:33], v[18:19]
	v_add_f64 v[30:31], v[12:13], -v[32:33]
	v_add_f64 v[18:19], v[18:19], -v[30:31]
	s_andn2_saveexec_b32 s1, s1
	s_cbranch_execnz .LBB1_108
	s_branch .LBB1_109
.LBB1_107:                              ;   in Loop: Header=BB1_93 Depth=3
	s_andn2_saveexec_b32 s1, s1
	s_cbranch_execz .LBB1_109
.LBB1_108:                              ;   in Loop: Header=BB1_93 Depth=3
	v_mul_f64 v[12:13], |v[81:82]|, s[6:7]
	s_mov_b32 s96, s16
	v_rndne_f64_e32 v[30:31], v[12:13]
	v_fma_f64 v[12:13], v[30:31], s[94:95], |v[81:82]|
	v_mul_f64 v[18:19], v[30:31], s[16:17]
	v_cvt_i32_f64_e32 v27, v[30:31]
	v_fma_f64 v[34:35], v[30:31], s[16:17], v[12:13]
	v_add_f64 v[32:33], v[12:13], v[18:19]
	v_add_f64 v[12:13], v[12:13], -v[32:33]
	v_add_f64 v[32:33], v[32:33], -v[34:35]
	v_add_f64 v[12:13], v[12:13], v[18:19]
	v_fma_f64 v[18:19], v[30:31], s[96:97], v[18:19]
	v_add_f64 v[12:13], v[32:33], v[12:13]
	v_add_f64 v[12:13], v[12:13], -v[18:19]
	v_fma_f64 v[18:19], v[30:31], s[10:11], v[12:13]
	v_add_f64 v[12:13], v[34:35], v[18:19]
	v_add_f64 v[32:33], v[12:13], -v[34:35]
	v_add_f64 v[18:19], v[18:19], -v[32:33]
.LBB1_109:                              ;   in Loop: Header=BB1_93 Depth=3
	s_or_b32 exec_lo, exec_lo, s1
	v_mul_f64 v[34:35], v[0:1], v[0:1]
	v_mul_f64 v[42:43], v[6:7], 0.5
	s_mov_b32 s4, s24
	v_and_b32_e32 v2, 1, v39
	s_mov_b32 s48, s50
	s_mov_b32 s46, s52
                                        ; implicit-def: $vgpr123_vgpr124
                                        ; implicit-def: $vgpr125_vgpr126
	v_cmp_eq_u32_e32 vcc_lo, 0, v2
	v_lshlrev_b32_e32 v2, 30, v39
	v_xor_b32_e32 v2, v2, v78
	v_and_b32_e32 v2, 0x80000000, v2
	v_mul_f64 v[32:33], v[34:35], 0.5
	v_add_f64 v[30:31], -v[32:33], 1.0
	v_add_f64 v[36:37], -v[30:31], 1.0
	v_add_f64 v[36:37], v[36:37], -v[32:33]
	v_fma_f64 v[32:33], v[34:35], s[28:29], s[26:27]
	v_fma_f64 v[36:37], v[0:1], -v[6:7], v[36:37]
	v_fma_f64 v[32:33], v[34:35], v[32:33], s[30:31]
	v_fma_f64 v[32:33], v[34:35], v[32:33], s[34:35]
	;; [unrolled: 1-line block ×3, first 2 shown]
	v_mul_f64 v[32:33], v[0:1], -v[34:35]
	v_fma_f64 v[40:41], v[32:33], v[40:41], v[42:43]
	v_fma_f64 v[6:7], v[34:35], v[40:41], -v[6:7]
	v_fma_f64 v[40:41], v[34:35], s[14:15], s[12:13]
	v_fma_f64 v[6:7], v[32:33], s[4:5], v[6:7]
	;; [unrolled: 1-line block ×3, first 2 shown]
	v_add_f64 v[0:1], v[0:1], -v[6:7]
	v_fma_f64 v[40:41], v[34:35], v[40:41], s[20:21]
	v_fma_f64 v[40:41], v[34:35], v[40:41], s[22:23]
	v_fma_f64 v[40:41], v[34:35], v[40:41], s[24:25]
	v_mul_f64 v[34:35], v[34:35], v[34:35]
	v_fma_f64 v[34:35], v[34:35], v[40:41], v[36:37]
	v_mul_f64 v[36:37], v[12:13], v[12:13]
	v_add_f64 v[30:31], v[30:31], v[34:35]
	v_mul_f64 v[40:41], v[36:37], 0.5
	v_mul_f64 v[46:47], v[36:37], v[36:37]
	v_mul_f64 v[52:53], v[12:13], -v[36:37]
	v_cndmask_b32_e32 v1, v31, v1, vcc_lo
	v_add_f64 v[42:43], -v[40:41], 1.0
	v_cndmask_b32_e32 v0, v30, v0, vcc_lo
	v_xor_b32_e32 v1, v1, v2
	v_and_b32_e32 v2, 1, v27
	v_cndmask_b32_e64 v30, 0, v0, s0
	v_cndmask_b32_e64 v31, 0x7ff80000, v1, s0
	v_cmp_class_f64_e64 s0, v[81:82], 0x1f8
	v_mul_f64 v[0:1], v[30:31], v[30:31]
	v_cmp_gt_f64_e64 s1, s[40:41], v[30:31]
	v_add_f64 v[44:45], -v[42:43], 1.0
	v_cndmask_b32_e64 v1, v1, 0x3c9cd2b2, s1
	v_cndmask_b32_e64 v0, v0, 0x97d889bc, s1
	;; [unrolled: 1-line block ×4, first 2 shown]
	v_mul_f64 v[32:33], v[0:1], v[0:1]
	v_add_f64 v[40:41], v[44:45], -v[40:41]
	v_fma_f64 v[44:45], v[36:37], s[14:15], s[12:13]
	v_mul_f64 v[10:11], -v[30:31], v[10:11]
	v_div_scale_f64 v[0:1], null, v[32:33], v[32:33], v[121:122]
	v_fma_f64 v[44:45], v[36:37], v[44:45], s[18:19]
	v_fma_f64 v[40:41], v[12:13], -v[18:19], v[40:41]
	v_rcp_f64_e32 v[6:7], v[0:1]
	v_fma_f64 v[44:45], v[36:37], v[44:45], s[20:21]
	v_fma_f64 v[44:45], v[36:37], v[44:45], s[22:23]
	v_fma_f64 v[34:35], -v[0:1], v[6:7], 1.0
	v_fma_f64 v[44:45], v[36:37], v[44:45], s[24:25]
	v_fma_f64 v[6:7], v[6:7], v[34:35], v[6:7]
	;; [unrolled: 1-line block ×4, first 2 shown]
	v_mul_f64 v[46:47], v[18:19], 0.5
	v_fma_f64 v[34:35], -v[0:1], v[6:7], 1.0
	v_fma_f64 v[44:45], v[36:37], v[44:45], s[30:31]
	v_fma_f64 v[6:7], v[6:7], v[34:35], v[6:7]
	v_div_scale_f64 v[34:35], vcc_lo, v[121:122], v[32:33], v[121:122]
	v_fma_f64 v[44:45], v[36:37], v[44:45], s[34:35]
	v_fma_f64 v[44:45], v[36:37], v[44:45], s[36:37]
	;; [unrolled: 1-line block ×3, first 2 shown]
	v_fma_f64 v[18:19], v[36:37], v[44:45], -v[18:19]
	v_mul_f64 v[36:37], v[34:35], v[6:7]
	v_fma_f64 v[0:1], -v[0:1], v[36:37], v[34:35]
	v_div_fmas_f64 v[34:35], v[0:1], v[6:7], v[36:37]
	v_fma_f64 v[0:1], v[52:53], s[4:5], v[18:19]
	v_add_f64 v[6:7], v[42:43], v[40:41]
	v_cmp_eq_u32_e32 vcc_lo, 0, v2
	v_lshlrev_b32_e32 v2, 30, v27
	v_and_b32_e32 v2, 0x80000000, v2
	v_div_fixup_f64 v[32:33], v[34:35], v[32:33], v[121:122]
	v_add_f64 v[0:1], v[12:13], -v[0:1]
	v_add_f64 v[30:31], v[32:33], -v[8:9]
	v_xor_b32_e32 v1, 0x80000000, v1
	v_cndmask_b32_e32 v0, v0, v6, vcc_lo
	v_cndmask_b32_e32 v1, v1, v7, vcc_lo
	v_cndmask_b32_e64 v12, 0, v0, s0
	v_xor_b32_e32 v1, v1, v2
	v_cndmask_b32_e64 v13, 0x7ff80000, v1, s0
	v_fma_f64 v[0:1], v[83:84], -2.0, v[100:101]
	v_mul_f64 v[10:11], v[30:31], v[10:11]
	v_add_f64 v[6:7], v[8:9], v[0:1]
	s_clause 0x3
	buffer_load_dword v0, off, s[100:103], 0 offset:40
	buffer_load_dword v1, off, s[100:103], 0 offset:44
	buffer_load_dword v2, off, s[100:103], 0
	buffer_load_dword v3, off, s[100:103], 0 offset:4
	v_mul_f64 v[10:11], v[10:11], v[85:86]
	v_mul_f64 v[96:97], v[50:51], v[10:11]
	v_fma_f64 v[10:11], v[74:75], s[52:53], v[116:117]
	v_fma_f64 v[10:11], v[96:97], s[50:51], v[10:11]
	s_waitcnt vmcnt(2)
	v_mul_f64 v[78:79], v[50:51], -v[0:1]
	v_fma_f64 v[0:1], v[78:79], s[44:45], v[65:66]
	v_mul_f64 v[18:19], v[6:7], -v[0:1]
	v_mul_f64 v[18:19], v[18:19], v[85:86]
	v_mul_f64 v[94:95], v[50:51], v[18:19]
	v_fma_f64 v[18:19], v[76:77], s[52:53], v[69:70]
	v_fma_f64 v[92:93], v[94:95], s[50:51], v[18:19]
	v_mul_f64 v[18:19], v[12:13], v[12:13]
	v_mul_f64 v[102:103], v[92:93], v[92:93]
	v_fma_f64 v[98:99], v[8:9], v[18:19], v[102:103]
	v_div_scale_f64 v[18:19], null, v[98:99], v[98:99], 1.0
	v_rcp_f64_e32 v[36:37], v[18:19]
	v_fma_f64 v[39:40], -v[18:19], v[36:37], 1.0
	v_fma_f64 v[36:37], v[36:37], v[39:40], v[36:37]
	v_fma_f64 v[39:40], -v[18:19], v[36:37], 1.0
	v_fma_f64 v[36:37], v[36:37], v[39:40], v[36:37]
	v_div_scale_f64 v[39:40], vcc_lo, 1.0, v[98:99], 1.0
	v_mul_f64 v[41:42], v[39:40], v[36:37]
	v_fma_f64 v[18:19], -v[18:19], v[41:42], v[39:40]
                                        ; implicit-def: $vgpr40
	v_div_fmas_f64 v[18:19], v[18:19], v[36:37], v[41:42]
	s_mov_b32 vcc_lo, s52
	v_div_fixup_f64 v[104:105], v[18:19], v[98:99], 1.0
	s_waitcnt vmcnt(0)
	v_fma_f64 v[18:19], v[48:49], vcc, v[2:3]
	v_mul_f64 v[10:11], v[104:105], -v[10:11]
	v_fma_f64 v[18:19], v[88:89], s[48:49], v[18:19]
	v_mul_f64 v[80:81], v[50:51], v[10:11]
	v_fma_f64 v[90:91], v[80:81], s[46:47], v[18:19]
	v_cmp_ngt_f64_e64 s1, 0x41d00000, |v[90:91]|
	v_trig_preop_f64 v[34:35], |v[90:91]|, 0
	v_trig_preop_f64 v[30:31], |v[90:91]|, 1
	v_ldexp_f64 v[36:37], |v[90:91]|, 0xffffff80
	v_trig_preop_f64 v[32:33], |v[90:91]|, 2
	v_and_b32_e32 v39, 0x7fffffff, v91
	s_and_saveexec_b32 s4, s1
	s_xor_b32 s4, exec_lo, s4
	s_cbranch_execz .LBB1_111
; %bb.110:                              ;   in Loop: Header=BB1_93 Depth=3
	v_cmp_le_f64_e64 vcc_lo, 0x7b000000, |v[90:91]|
	s_mov_b32 s92, s94
	s_mov_b32 s99, s97
	v_cndmask_b32_e32 v11, v39, v37, vcc_lo
	v_cndmask_b32_e32 v10, v90, v36, vcc_lo
	v_mul_f64 v[18:19], v[34:35], v[10:11]
	v_mul_f64 v[40:41], v[30:31], v[10:11]
	v_mul_f64 v[52:53], v[32:33], v[10:11]
	v_fma_f64 v[42:43], v[34:35], v[10:11], -v[18:19]
	v_add_f64 v[44:45], v[40:41], v[42:43]
	v_add_f64 v[46:47], v[44:45], -v[40:41]
	v_add_f64 v[42:43], v[42:43], -v[46:47]
	;; [unrolled: 1-line block ×4, first 2 shown]
	v_fma_f64 v[40:41], v[30:31], v[10:11], -v[40:41]
	v_fma_f64 v[10:11], v[32:33], v[10:11], -v[52:53]
	v_add_f64 v[42:43], v[42:43], v[46:47]
	v_add_f64 v[54:55], v[52:53], v[40:41]
	;; [unrolled: 1-line block ×3, first 2 shown]
	v_add_f64 v[56:57], v[54:55], -v[52:53]
	v_add_f64 v[18:19], v[46:47], -v[18:19]
	v_ldexp_f64 v[46:47], v[46:47], -2
	v_add_f64 v[40:41], v[40:41], -v[56:57]
	v_add_f64 v[56:57], v[54:55], -v[56:57]
	;; [unrolled: 1-line block ×3, first 2 shown]
	v_add_f64 v[44:45], v[54:55], v[42:43]
	v_cmp_neq_f64_e64 vcc_lo, 0x7ff00000, |v[46:47]|
	v_fract_f64_e32 v[46:47], v[46:47]
	v_add_f64 v[52:53], v[52:53], -v[56:57]
	v_ldexp_f64 v[46:47], v[46:47], 2
	v_add_f64 v[40:41], v[40:41], v[52:53]
	v_add_f64 v[52:53], v[44:45], -v[54:55]
	v_cndmask_b32_e32 v47, 0, v47, vcc_lo
	v_cndmask_b32_e32 v46, 0, v46, vcc_lo
	v_add_f64 v[42:43], v[42:43], -v[52:53]
	v_add_f64 v[52:53], v[44:45], -v[52:53]
	;; [unrolled: 1-line block ×3, first 2 shown]
	v_add_f64 v[42:43], v[42:43], v[52:53]
	v_add_f64 v[52:53], v[18:19], v[44:45]
	;; [unrolled: 1-line block ×4, first 2 shown]
	v_add_f64 v[18:19], v[52:53], -v[18:19]
	v_add_f64 v[10:11], v[10:11], v[40:41]
	v_cmp_gt_f64_e32 vcc_lo, 0, v[54:55]
	v_add_f64 v[18:19], v[44:45], -v[18:19]
	v_cndmask_b32_e64 v27, 0, 0x40100000, vcc_lo
	v_add_f64 v[10:11], v[18:19], v[10:11]
	v_add_f64 v[40:41], v[46:47], v[26:27]
	;; [unrolled: 1-line block ×3, first 2 shown]
	v_cvt_i32_f64_e32 v2, v[42:43]
	v_cvt_f64_i32_e32 v[42:43], v2
	v_add_f64 v[40:41], v[40:41], -v[42:43]
	v_add_f64 v[18:19], v[52:53], v[40:41]
	v_add_f64 v[40:41], v[18:19], -v[40:41]
	v_cmp_le_f64_e32 vcc_lo, 0.5, v[18:19]
	v_add_f64 v[40:41], v[52:53], -v[40:41]
	v_cndmask_b32_e64 v27, 0, 0x3ff00000, vcc_lo
	v_add_f64 v[18:19], v[18:19], -v[26:27]
	v_add_f64 v[10:11], v[10:11], v[40:41]
	v_add_f64 v[40:41], v[18:19], v[10:11]
	v_add_f64 v[18:19], v[40:41], -v[18:19]
	v_add_f64 v[10:11], v[10:11], -v[18:19]
	v_mul_f64 v[18:19], v[40:41], s[92:93]
	v_fma_f64 v[42:43], v[40:41], s[92:93], -v[18:19]
	v_fma_f64 v[40:41], v[40:41], s[98:99], v[42:43]
	v_fma_f64 v[10:11], v[10:11], s[92:93], v[40:41]
	v_add_co_ci_u32_e64 v40, null, 0, v2, vcc_lo
	v_add_f64 v[123:124], v[18:19], v[10:11]
	v_add_f64 v[18:19], v[123:124], -v[18:19]
	v_add_f64 v[125:126], v[10:11], -v[18:19]
	s_andn2_saveexec_b32 s4, s4
	s_cbranch_execz .LBB1_113
	s_branch .LBB1_112
.LBB1_111:                              ;   in Loop: Header=BB1_93 Depth=3
	s_andn2_saveexec_b32 s4, s4
	s_cbranch_execz .LBB1_113
.LBB1_112:                              ;   in Loop: Header=BB1_93 Depth=3
	v_mul_f64 v[10:11], |v[90:91]|, s[6:7]
	s_mov_b32 s96, s16
	v_rndne_f64_e32 v[10:11], v[10:11]
	v_fma_f64 v[18:19], v[10:11], s[94:95], |v[90:91]|
	v_mul_f64 v[40:41], v[10:11], s[16:17]
	v_fma_f64 v[44:45], v[10:11], s[16:17], v[18:19]
	v_add_f64 v[42:43], v[18:19], v[40:41]
	v_add_f64 v[18:19], v[18:19], -v[42:43]
	v_add_f64 v[42:43], v[42:43], -v[44:45]
	v_add_f64 v[18:19], v[18:19], v[40:41]
	v_fma_f64 v[40:41], v[10:11], s[96:97], v[40:41]
	v_add_f64 v[18:19], v[42:43], v[18:19]
	v_add_f64 v[18:19], v[18:19], -v[40:41]
	v_fma_f64 v[18:19], v[10:11], s[10:11], v[18:19]
	v_add_f64 v[123:124], v[44:45], v[18:19]
	v_add_f64 v[40:41], v[123:124], -v[44:45]
	v_add_f64 v[125:126], v[18:19], -v[40:41]
	v_cvt_i32_f64_e32 v40, v[10:11]
.LBB1_113:                              ;   in Loop: Header=BB1_93 Depth=3
	s_or_b32 exec_lo, exec_lo, s4
                                        ; implicit-def: $vgpr27
                                        ; implicit-def: $vgpr10_vgpr11
                                        ; implicit-def: $vgpr18_vgpr19
	s_and_saveexec_b32 s4, s1
	s_xor_b32 s1, exec_lo, s4
	s_cbranch_execz .LBB1_115
; %bb.114:                              ;   in Loop: Header=BB1_93 Depth=3
	v_cmp_le_f64_e64 vcc_lo, 0x7b000000, |v[90:91]|
	s_mov_b32 s92, s94
	s_mov_b32 s99, s97
	v_cndmask_b32_e32 v11, v39, v37, vcc_lo
	v_cndmask_b32_e32 v10, v90, v36, vcc_lo
	v_mul_f64 v[18:19], v[34:35], v[10:11]
	v_mul_f64 v[36:37], v[30:31], v[10:11]
	;; [unrolled: 1-line block ×3, first 2 shown]
	v_fma_f64 v[34:35], v[34:35], v[10:11], -v[18:19]
	v_fma_f64 v[30:31], v[30:31], v[10:11], -v[36:37]
	;; [unrolled: 1-line block ×3, first 2 shown]
	v_add_f64 v[43:44], v[36:37], v[34:35]
	v_add_f64 v[32:33], v[43:44], -v[36:37]
	v_add_f64 v[34:35], v[34:35], -v[32:33]
	;; [unrolled: 1-line block ×4, first 2 shown]
	v_add_f64 v[36:37], v[41:42], v[30:31]
	v_add_f64 v[32:33], v[34:35], v[32:33]
	v_add_f64 v[34:35], v[18:19], v[43:44]
	v_add_f64 v[45:46], v[36:37], -v[41:42]
	v_add_f64 v[18:19], v[34:35], -v[18:19]
	v_ldexp_f64 v[34:35], v[34:35], -2
	v_add_f64 v[30:31], v[30:31], -v[45:46]
	v_add_f64 v[45:46], v[36:37], -v[45:46]
	v_add_f64 v[18:19], v[43:44], -v[18:19]
	v_cmp_neq_f64_e64 vcc_lo, 0x7ff00000, |v[34:35]|
	v_fract_f64_e32 v[34:35], v[34:35]
	v_add_f64 v[41:42], v[41:42], -v[45:46]
	v_add_f64 v[43:44], v[36:37], v[32:33]
	v_ldexp_f64 v[34:35], v[34:35], 2
	v_add_f64 v[30:31], v[30:31], v[41:42]
	v_add_f64 v[41:42], v[18:19], v[43:44]
	v_cndmask_b32_e32 v35, 0, v35, vcc_lo
	v_cndmask_b32_e32 v34, 0, v34, vcc_lo
	v_add_f64 v[18:19], v[41:42], -v[18:19]
	v_add_f64 v[45:46], v[41:42], v[34:35]
	v_add_f64 v[18:19], v[43:44], -v[18:19]
	v_cmp_gt_f64_e32 vcc_lo, 0, v[45:46]
	v_add_f64 v[45:46], v[43:44], -v[36:37]
	v_cndmask_b32_e64 v27, 0, 0x40100000, vcc_lo
	v_add_f64 v[32:33], v[32:33], -v[45:46]
	v_add_f64 v[45:46], v[43:44], -v[45:46]
	v_add_f64 v[34:35], v[34:35], v[26:27]
	v_add_f64 v[36:37], v[36:37], -v[45:46]
	v_add_f64 v[45:46], v[41:42], v[34:35]
	v_add_f64 v[32:33], v[32:33], v[36:37]
	v_cvt_i32_f64_e32 v2, v[45:46]
	v_add_f64 v[30:31], v[30:31], v[32:33]
	v_cvt_f64_i32_e32 v[36:37], v2
	v_add_f64 v[10:11], v[10:11], v[30:31]
	v_add_f64 v[34:35], v[34:35], -v[36:37]
	v_add_f64 v[10:11], v[18:19], v[10:11]
	v_add_f64 v[32:33], v[41:42], v[34:35]
	v_add_f64 v[30:31], v[32:33], -v[34:35]
	v_cmp_le_f64_e32 vcc_lo, 0.5, v[32:33]
	v_add_f64 v[18:19], v[41:42], -v[30:31]
	v_cndmask_b32_e64 v27, 0, 0x3ff00000, vcc_lo
	v_add_f64 v[10:11], v[10:11], v[18:19]
	v_add_f64 v[18:19], v[32:33], -v[26:27]
	v_add_co_ci_u32_e64 v27, null, 0, v2, vcc_lo
	v_add_f64 v[30:31], v[18:19], v[10:11]
	v_mul_f64 v[32:33], v[30:31], s[92:93]
	v_add_f64 v[18:19], v[30:31], -v[18:19]
	v_fma_f64 v[34:35], v[30:31], s[92:93], -v[32:33]
	v_add_f64 v[10:11], v[10:11], -v[18:19]
	v_fma_f64 v[18:19], v[30:31], s[98:99], v[34:35]
	v_fma_f64 v[18:19], v[10:11], s[92:93], v[18:19]
	v_add_f64 v[10:11], v[32:33], v[18:19]
	v_add_f64 v[30:31], v[10:11], -v[32:33]
	v_add_f64 v[18:19], v[18:19], -v[30:31]
	s_andn2_saveexec_b32 s1, s1
	s_cbranch_execnz .LBB1_116
	s_branch .LBB1_117
.LBB1_115:                              ;   in Loop: Header=BB1_93 Depth=3
	s_andn2_saveexec_b32 s1, s1
	s_cbranch_execz .LBB1_117
.LBB1_116:                              ;   in Loop: Header=BB1_93 Depth=3
	v_mul_f64 v[10:11], |v[90:91]|, s[6:7]
	s_mov_b32 s96, s16
	v_rndne_f64_e32 v[30:31], v[10:11]
	v_fma_f64 v[10:11], v[30:31], s[94:95], |v[90:91]|
	v_mul_f64 v[18:19], v[30:31], s[16:17]
	v_cvt_i32_f64_e32 v27, v[30:31]
	v_fma_f64 v[34:35], v[30:31], s[16:17], v[10:11]
	v_add_f64 v[32:33], v[10:11], v[18:19]
	v_add_f64 v[10:11], v[10:11], -v[32:33]
	v_add_f64 v[32:33], v[32:33], -v[34:35]
	v_add_f64 v[10:11], v[10:11], v[18:19]
	v_fma_f64 v[18:19], v[30:31], s[96:97], v[18:19]
	v_add_f64 v[10:11], v[32:33], v[10:11]
	v_add_f64 v[10:11], v[10:11], -v[18:19]
	v_fma_f64 v[18:19], v[30:31], s[10:11], v[10:11]
	v_add_f64 v[10:11], v[34:35], v[18:19]
	v_add_f64 v[32:33], v[10:11], -v[34:35]
	v_add_f64 v[18:19], v[18:19], -v[32:33]
.LBB1_117:                              ;   in Loop: Header=BB1_93 Depth=3
	s_or_b32 exec_lo, exec_lo, s1
	s_clause 0x1
	buffer_load_dword v2, off, s[100:103], 0
	buffer_load_dword v3, off, s[100:103], 0 offset:4
	v_mul_f64 v[6:7], v[6:7], v[106:107]
	s_mov_b32 vcc_lo, s52
	v_add_f64 v[30:31], v[83:84], v[83:84]
	v_fma_f64 v[32:33], v[76:77], vcc, v[69:70]
	v_fma_f64 v[41:42], v[74:75], vcc, v[116:117]
	s_mov_b32 s48, s50
	v_fma_f64 v[36:37], v[78:79], s[52:53], v[65:66]
	s_mov_b32 s4, s24
	v_lshlrev_b32_e32 v4, 30, v38
	s_mov_b32 s46, s52
	v_mov_b32_e32 v20, v121
	v_mov_b32_e32 v21, v122
	s_mov_b32 s54, s56
	v_xor_b32_e32 v4, v4, v82
	v_mov_b32_e32 v22, v116
	v_mov_b32_e32 v23, v117
                                        ; implicit-def: $vgpr56
                                        ; implicit-def: $vgpr115_vgpr116
                                        ; implicit-def: $vgpr117_vgpr118
	v_and_b32_e32 v4, 0x80000000, v4
	v_div_scale_f64 v[43:44], null, v[6:7], v[6:7], 1.0
	v_rcp_f64_e32 v[45:46], v[43:44]
	v_fma_f64 v[52:53], -v[43:44], v[45:46], 1.0
	v_fma_f64 v[45:46], v[45:46], v[52:53], v[45:46]
	v_fma_f64 v[52:53], -v[43:44], v[45:46], 1.0
	v_fma_f64 v[45:46], v[45:46], v[52:53], v[45:46]
	v_div_scale_f64 v[52:53], vcc_lo, 1.0, v[6:7], 1.0
	v_mul_f64 v[54:55], v[52:53], v[45:46]
	v_fma_f64 v[43:44], -v[43:44], v[54:55], v[52:53]
	v_div_fmas_f64 v[43:44], v[43:44], v[45:46], v[54:55]
	v_add_f64 v[45:46], v[83:84], -1.0
	v_div_fixup_f64 v[6:7], v[43:44], v[6:7], 1.0
	v_add_f64 v[43:44], v[8:9], v[100:101]
	s_waitcnt vmcnt(0)
	v_fma_f64 v[34:35], v[48:49], s[64:65], v[2:3]
	s_clause 0x1
	buffer_load_dword v2, off, s[100:103], 0 offset:8
	buffer_load_dword v3, off, s[100:103], 0 offset:12
	s_waitcnt vmcnt(0)
	v_mul_f64 v[52:53], v[2:3], v[45:46]
	s_clause 0x1
	buffer_load_dword v2, off, s[100:103], 0 offset:16
	buffer_load_dword v3, off, s[100:103], 0 offset:20
	v_fma_f64 v[30:31], v[30:31], v[43:44], -v[52:53]
	v_add_f64 v[43:44], v[0:1], v[0:1]
	v_mul_f64 v[0:1], v[0:1], v[43:44]
	v_mul_f64 v[43:44], v[110:111], 0.5
	v_mul_f64 v[0:1], v[45:46], v[0:1]
	v_mul_f64 v[0:1], v[0:1], v[85:86]
	s_waitcnt vmcnt(0)
	v_add_f64 v[30:31], v[30:31], -v[2:3]
	v_and_b32_e32 v2, 1, v38
	v_cmp_eq_u32_e32 vcc_lo, 0, v2
	v_fma_f64 v[0:1], v[30:31], v[6:7], -v[0:1]
	v_mul_f64 v[6:7], v[108:109], v[108:109]
	v_fma_f64 v[30:31], v[94:95], s[48:49], v[32:33]
	v_fma_f64 v[32:33], 0x40040000, v[88:89], v[34:35]
	v_fma_f64 v[34:35], v[96:97], s[48:49], v[41:42]
	v_mul_f64 v[100:101], v[50:51], -v[0:1]
	v_fma_f64 v[41:42], v[6:7], s[28:29], s[26:27]
	v_fma_f64 v[52:53], v[6:7], s[14:15], s[12:13]
	v_mul_f64 v[45:46], v[6:7], v[6:7]
	v_fma_f64 v[0:1], v[100:101], s[50:51], v[36:37]
	v_fma_f64 v[41:42], v[6:7], v[41:42], s[30:31]
	v_mul_f64 v[36:37], v[108:109], -v[6:7]
	v_fma_f64 v[52:53], v[6:7], v[52:53], s[18:19]
	v_fma_f64 v[41:42], v[6:7], v[41:42], s[34:35]
	;; [unrolled: 1-line block ×6, first 2 shown]
	v_fma_f64 v[41:42], v[6:7], v[41:42], -v[110:111]
	v_fma_f64 v[36:37], v[36:37], s[4:5], v[41:42]
	v_mul_f64 v[41:42], v[6:7], 0.5
	v_fma_f64 v[6:7], v[6:7], v[52:53], s[24:25]
	v_add_f64 v[36:37], v[108:109], -v[36:37]
	v_add_f64 v[43:44], -v[41:42], 1.0
	v_add_f64 v[52:53], -v[43:44], 1.0
	v_add_f64 v[41:42], v[52:53], -v[41:42]
	v_fma_f64 v[41:42], v[108:109], -v[110:111], v[41:42]
	v_fma_f64 v[6:7], v[45:46], v[6:7], v[41:42]
	v_add_f64 v[6:7], v[43:44], v[6:7]
	v_cndmask_b32_e32 v3, v7, v37, vcc_lo
	v_cndmask_b32_e32 v2, v6, v36, vcc_lo
	v_xor_b32_e32 v3, v3, v4
	v_cndmask_b32_e64 v36, 0, v2, s0
	v_lshlrev_b32_e32 v4, 30, v27
	v_cndmask_b32_e64 v37, 0x7ff80000, v3, s0
	v_cmp_class_f64_e64 s0, v[90:91], 0x1f8
	v_and_b32_e32 v3, 1, v27
	v_and_b32_e32 v4, 0x80000000, v4
	v_mul_f64 v[6:7], v[36:37], v[36:37]
	v_cmp_gt_f64_e32 vcc_lo, s[40:41], v[36:37]
	v_cndmask_b32_e64 v107, v7, 0x3c9cd2b2, vcc_lo
	v_cndmask_b32_e64 v106, v6, 0x97d889bc, vcc_lo
	;; [unrolled: 1-line block ×4, first 2 shown]
	v_fma_f64 v[6:7], v[92:93], -2.0, v[102:103]
	v_mul_f64 v[12:13], -v[36:37], v[12:13]
	v_mul_f64 v[36:37], v[106:107], v[106:107]
	v_add_f64 v[6:7], v[8:9], v[6:7]
	v_div_scale_f64 v[41:42], null, v[36:37], v[36:37], v[121:122]
	v_mul_f64 v[38:39], v[6:7], -v[0:1]
	v_rcp_f64_e32 v[43:44], v[41:42]
	v_mul_f64 v[38:39], v[38:39], v[104:105]
	v_fma_f64 v[45:46], -v[41:42], v[43:44], 1.0
	v_mul_f64 v[84:85], v[50:51], v[38:39]
	v_fma_f64 v[43:44], v[43:44], v[45:46], v[43:44]
	v_fma_f64 v[108:109], v[84:85], s[46:47], v[30:31]
	v_fma_f64 v[45:46], -v[41:42], v[43:44], 1.0
	v_mul_f64 v[110:111], v[108:109], v[108:109]
	v_fma_f64 v[43:44], v[43:44], v[45:46], v[43:44]
	v_div_scale_f64 v[45:46], vcc_lo, v[121:122], v[36:37], v[121:122]
	v_mul_f64 v[52:53], v[45:46], v[43:44]
	v_fma_f64 v[41:42], -v[41:42], v[52:53], v[45:46]
	v_div_fmas_f64 v[41:42], v[41:42], v[43:44], v[52:53]
	v_cmp_eq_u32_e32 vcc_lo, 0, v3
	v_div_fixup_f64 v[36:37], v[41:42], v[36:37], v[121:122]
	v_add_f64 v[36:37], v[36:37], -v[8:9]
	v_mul_f64 v[12:13], v[36:37], v[12:13]
	v_mul_f64 v[36:37], v[12:13], v[104:105]
	v_fma_f64 v[12:13], v[80:81], s[56:57], v[32:33]
	v_mul_f64 v[82:83], v[50:51], v[36:37]
	v_fma_f64 v[30:31], v[82:83], s[46:47], v[34:35]
	v_mul_f64 v[34:35], v[10:11], v[10:11]
	v_mul_f64 v[32:33], v[34:35], 0.5
	v_fma_f64 v[41:42], v[34:35], s[14:15], s[12:13]
	v_add_f64 v[36:37], -v[32:33], 1.0
	v_fma_f64 v[41:42], v[34:35], v[41:42], s[18:19]
	v_add_f64 v[38:39], -v[36:37], 1.0
	v_fma_f64 v[41:42], v[34:35], v[41:42], s[20:21]
	v_add_f64 v[32:33], v[38:39], -v[32:33]
	v_fma_f64 v[41:42], v[34:35], v[41:42], s[22:23]
	v_mul_f64 v[38:39], v[34:35], v[34:35]
	v_fma_f64 v[32:33], v[10:11], -v[18:19], v[32:33]
	v_fma_f64 v[41:42], v[34:35], v[41:42], s[24:25]
	v_fma_f64 v[32:33], v[38:39], v[41:42], v[32:33]
	v_mul_f64 v[38:39], v[10:11], -v[34:35]
	v_mul_f64 v[41:42], v[18:19], 0.5
	v_add_f64 v[32:33], v[36:37], v[32:33]
	v_fma_f64 v[36:37], v[34:35], s[28:29], s[26:27]
	v_fma_f64 v[36:37], v[34:35], v[36:37], s[30:31]
	;; [unrolled: 1-line block ×5, first 2 shown]
	v_fma_f64 v[18:19], v[34:35], v[36:37], -v[18:19]
	v_fma_f64 v[18:19], v[38:39], s[4:5], v[18:19]
	v_add_f64 v[10:11], v[10:11], -v[18:19]
	v_xor_b32_e32 v2, 0x80000000, v11
	v_cndmask_b32_e32 v3, v10, v32, vcc_lo
	v_cndmask_b32_e32 v2, v2, v33, vcc_lo
	v_cndmask_b32_e64 v10, 0, v3, s0
	v_xor_b32_e32 v2, v2, v4
	v_cndmask_b32_e64 v11, 0x7ff80000, v2, s0
	v_mul_f64 v[18:19], v[10:11], v[10:11]
	v_fma_f64 v[119:120], v[8:9], v[18:19], v[110:111]
	v_div_scale_f64 v[18:19], null, v[119:120], v[119:120], 1.0
	v_rcp_f64_e32 v[32:33], v[18:19]
	v_fma_f64 v[34:35], -v[18:19], v[32:33], 1.0
	v_fma_f64 v[32:33], v[32:33], v[34:35], v[32:33]
	v_fma_f64 v[34:35], -v[18:19], v[32:33], 1.0
	v_fma_f64 v[32:33], v[32:33], v[34:35], v[32:33]
	v_div_scale_f64 v[34:35], vcc_lo, 1.0, v[119:120], 1.0
	v_mul_f64 v[36:37], v[34:35], v[32:33]
	v_fma_f64 v[18:19], -v[18:19], v[36:37], v[34:35]
	v_div_fmas_f64 v[18:19], v[18:19], v[32:33], v[36:37]
	v_div_fixup_f64 v[121:122], v[18:19], v[119:120], 1.0
	v_mul_f64 v[18:19], v[121:122], -v[30:31]
	v_mul_f64 v[86:87], v[50:51], v[18:19]
	v_fma_f64 v[113:114], v[86:87], s[54:55], v[12:13]
	v_cmp_ngt_f64_e64 s1, 0x41d00000, |v[113:114]|
	v_trig_preop_f64 v[34:35], |v[113:114]|, 0
	v_trig_preop_f64 v[18:19], |v[113:114]|, 1
	v_ldexp_f64 v[36:37], |v[113:114]|, 0xffffff80
	v_trig_preop_f64 v[30:31], |v[113:114]|, 2
	v_and_b32_e32 v38, 0x7fffffff, v114
	s_and_saveexec_b32 s4, s1
	s_xor_b32 s4, exec_lo, s4
	s_cbranch_execz .LBB1_119
; %bb.118:                              ;   in Loop: Header=BB1_93 Depth=3
	v_cmp_le_f64_e64 vcc_lo, 0x7b000000, |v[113:114]|
	s_mov_b32 s92, s94
	s_mov_b32 s99, s97
	v_cndmask_b32_e32 v13, v38, v37, vcc_lo
	v_cndmask_b32_e32 v12, v113, v36, vcc_lo
	v_mul_f64 v[32:33], v[34:35], v[12:13]
	v_mul_f64 v[41:42], v[18:19], v[12:13]
	;; [unrolled: 1-line block ×3, first 2 shown]
	v_fma_f64 v[43:44], v[34:35], v[12:13], -v[32:33]
	v_add_f64 v[45:46], v[41:42], v[43:44]
	v_add_f64 v[52:53], v[45:46], -v[41:42]
	v_add_f64 v[43:44], v[43:44], -v[52:53]
	;; [unrolled: 1-line block ×4, first 2 shown]
	v_fma_f64 v[41:42], v[18:19], v[12:13], -v[41:42]
	v_fma_f64 v[12:13], v[30:31], v[12:13], -v[54:55]
	v_add_f64 v[43:44], v[43:44], v[52:53]
	v_add_f64 v[56:57], v[54:55], v[41:42]
	;; [unrolled: 1-line block ×3, first 2 shown]
	v_add_f64 v[58:59], v[56:57], -v[54:55]
	v_add_f64 v[32:33], v[52:53], -v[32:33]
	v_ldexp_f64 v[52:53], v[52:53], -2
	v_add_f64 v[41:42], v[41:42], -v[58:59]
	v_add_f64 v[58:59], v[56:57], -v[58:59]
	;; [unrolled: 1-line block ×3, first 2 shown]
	v_add_f64 v[45:46], v[56:57], v[43:44]
	v_cmp_neq_f64_e64 vcc_lo, 0x7ff00000, |v[52:53]|
	v_fract_f64_e32 v[52:53], v[52:53]
	v_add_f64 v[54:55], v[54:55], -v[58:59]
	v_ldexp_f64 v[52:53], v[52:53], 2
	v_add_f64 v[41:42], v[41:42], v[54:55]
	v_add_f64 v[54:55], v[45:46], -v[56:57]
	v_cndmask_b32_e32 v53, 0, v53, vcc_lo
	v_cndmask_b32_e32 v52, 0, v52, vcc_lo
	v_add_f64 v[43:44], v[43:44], -v[54:55]
	v_add_f64 v[54:55], v[45:46], -v[54:55]
	;; [unrolled: 1-line block ×3, first 2 shown]
	v_add_f64 v[43:44], v[43:44], v[54:55]
	v_add_f64 v[54:55], v[32:33], v[45:46]
	;; [unrolled: 1-line block ×4, first 2 shown]
	v_add_f64 v[32:33], v[54:55], -v[32:33]
	v_add_f64 v[12:13], v[12:13], v[41:42]
	v_cmp_gt_f64_e32 vcc_lo, 0, v[56:57]
	v_add_f64 v[32:33], v[45:46], -v[32:33]
	v_cndmask_b32_e64 v27, 0, 0x40100000, vcc_lo
	v_add_f64 v[12:13], v[32:33], v[12:13]
	v_add_f64 v[41:42], v[52:53], v[26:27]
	;; [unrolled: 1-line block ×3, first 2 shown]
	v_cvt_i32_f64_e32 v2, v[43:44]
	v_cvt_f64_i32_e32 v[43:44], v2
	v_add_f64 v[41:42], v[41:42], -v[43:44]
	v_add_f64 v[32:33], v[54:55], v[41:42]
	v_add_f64 v[41:42], v[32:33], -v[41:42]
	v_cmp_le_f64_e32 vcc_lo, 0.5, v[32:33]
	v_add_f64 v[41:42], v[54:55], -v[41:42]
	v_cndmask_b32_e64 v27, 0, 0x3ff00000, vcc_lo
	v_add_co_ci_u32_e64 v56, null, 0, v2, vcc_lo
	v_add_f64 v[32:33], v[32:33], -v[26:27]
	v_add_f64 v[12:13], v[12:13], v[41:42]
	v_add_f64 v[41:42], v[32:33], v[12:13]
	v_add_f64 v[32:33], v[41:42], -v[32:33]
	v_add_f64 v[12:13], v[12:13], -v[32:33]
	v_mul_f64 v[32:33], v[41:42], s[92:93]
	v_fma_f64 v[43:44], v[41:42], s[92:93], -v[32:33]
	v_fma_f64 v[41:42], v[41:42], s[98:99], v[43:44]
	v_fma_f64 v[12:13], v[12:13], s[92:93], v[41:42]
	v_add_f64 v[115:116], v[32:33], v[12:13]
	v_add_f64 v[32:33], v[115:116], -v[32:33]
	v_add_f64 v[117:118], v[12:13], -v[32:33]
	s_andn2_saveexec_b32 s4, s4
	s_cbranch_execz .LBB1_121
	s_branch .LBB1_120
.LBB1_119:                              ;   in Loop: Header=BB1_93 Depth=3
	s_andn2_saveexec_b32 s4, s4
	s_cbranch_execz .LBB1_121
.LBB1_120:                              ;   in Loop: Header=BB1_93 Depth=3
	v_mul_f64 v[12:13], |v[113:114]|, s[6:7]
	s_mov_b32 s96, s16
	v_rndne_f64_e32 v[12:13], v[12:13]
	v_fma_f64 v[32:33], v[12:13], s[94:95], |v[113:114]|
	v_mul_f64 v[41:42], v[12:13], s[16:17]
	v_cvt_i32_f64_e32 v56, v[12:13]
	v_fma_f64 v[45:46], v[12:13], s[16:17], v[32:33]
	v_add_f64 v[43:44], v[32:33], v[41:42]
	v_add_f64 v[32:33], v[32:33], -v[43:44]
	v_add_f64 v[43:44], v[43:44], -v[45:46]
	v_add_f64 v[32:33], v[32:33], v[41:42]
	v_fma_f64 v[41:42], v[12:13], s[96:97], v[41:42]
	v_add_f64 v[32:33], v[43:44], v[32:33]
	v_add_f64 v[32:33], v[32:33], -v[41:42]
	v_fma_f64 v[32:33], v[12:13], s[10:11], v[32:33]
	v_add_f64 v[115:116], v[45:46], v[32:33]
	v_add_f64 v[41:42], v[115:116], -v[45:46]
	v_add_f64 v[117:118], v[32:33], -v[41:42]
.LBB1_121:                              ;   in Loop: Header=BB1_93 Depth=3
	s_or_b32 exec_lo, exec_lo, s4
                                        ; implicit-def: $vgpr27
                                        ; implicit-def: $vgpr12_vgpr13
                                        ; implicit-def: $vgpr32_vgpr33
	s_and_saveexec_b32 s4, s1
	s_xor_b32 s1, exec_lo, s4
	s_cbranch_execz .LBB1_123
; %bb.122:                              ;   in Loop: Header=BB1_93 Depth=3
	v_cmp_le_f64_e64 vcc_lo, 0x7b000000, |v[113:114]|
	s_mov_b32 s92, s94
	s_mov_b32 s99, s97
	v_cndmask_b32_e32 v13, v38, v37, vcc_lo
	v_cndmask_b32_e32 v12, v113, v36, vcc_lo
	v_mul_f64 v[32:33], v[34:35], v[12:13]
	v_mul_f64 v[36:37], v[18:19], v[12:13]
	;; [unrolled: 1-line block ×3, first 2 shown]
	v_fma_f64 v[34:35], v[34:35], v[12:13], -v[32:33]
	v_fma_f64 v[18:19], v[18:19], v[12:13], -v[36:37]
	;; [unrolled: 1-line block ×3, first 2 shown]
	v_add_f64 v[41:42], v[36:37], v[34:35]
	v_add_f64 v[30:31], v[41:42], -v[36:37]
	v_add_f64 v[34:35], v[34:35], -v[30:31]
	;; [unrolled: 1-line block ×4, first 2 shown]
	v_add_f64 v[36:37], v[38:39], v[18:19]
	v_add_f64 v[30:31], v[34:35], v[30:31]
	;; [unrolled: 1-line block ×3, first 2 shown]
	v_add_f64 v[43:44], v[36:37], -v[38:39]
	v_add_f64 v[32:33], v[34:35], -v[32:33]
	v_ldexp_f64 v[34:35], v[34:35], -2
	v_add_f64 v[18:19], v[18:19], -v[43:44]
	v_add_f64 v[43:44], v[36:37], -v[43:44]
	;; [unrolled: 1-line block ×3, first 2 shown]
	v_cmp_neq_f64_e64 vcc_lo, 0x7ff00000, |v[34:35]|
	v_fract_f64_e32 v[34:35], v[34:35]
	v_add_f64 v[38:39], v[38:39], -v[43:44]
	v_add_f64 v[41:42], v[36:37], v[30:31]
	v_ldexp_f64 v[34:35], v[34:35], 2
	v_add_f64 v[18:19], v[18:19], v[38:39]
	v_add_f64 v[38:39], v[32:33], v[41:42]
	v_cndmask_b32_e32 v35, 0, v35, vcc_lo
	v_cndmask_b32_e32 v34, 0, v34, vcc_lo
	v_add_f64 v[32:33], v[38:39], -v[32:33]
	v_add_f64 v[43:44], v[38:39], v[34:35]
	v_add_f64 v[32:33], v[41:42], -v[32:33]
	v_cmp_gt_f64_e32 vcc_lo, 0, v[43:44]
	v_add_f64 v[43:44], v[41:42], -v[36:37]
	v_cndmask_b32_e64 v27, 0, 0x40100000, vcc_lo
	v_add_f64 v[30:31], v[30:31], -v[43:44]
	v_add_f64 v[43:44], v[41:42], -v[43:44]
	v_add_f64 v[34:35], v[34:35], v[26:27]
	v_add_f64 v[36:37], v[36:37], -v[43:44]
	v_add_f64 v[43:44], v[38:39], v[34:35]
	v_add_f64 v[30:31], v[30:31], v[36:37]
	v_cvt_i32_f64_e32 v2, v[43:44]
	v_add_f64 v[18:19], v[18:19], v[30:31]
	v_cvt_f64_i32_e32 v[36:37], v2
	v_add_f64 v[12:13], v[12:13], v[18:19]
	v_add_f64 v[34:35], v[34:35], -v[36:37]
	v_add_f64 v[12:13], v[32:33], v[12:13]
	v_add_f64 v[30:31], v[38:39], v[34:35]
	v_add_f64 v[18:19], v[30:31], -v[34:35]
	v_cmp_le_f64_e32 vcc_lo, 0.5, v[30:31]
	v_add_f64 v[18:19], v[38:39], -v[18:19]
	v_cndmask_b32_e64 v27, 0, 0x3ff00000, vcc_lo
	v_add_f64 v[12:13], v[12:13], v[18:19]
	v_add_f64 v[18:19], v[30:31], -v[26:27]
	v_add_co_ci_u32_e64 v27, null, 0, v2, vcc_lo
	v_add_f64 v[30:31], v[18:19], v[12:13]
	v_mul_f64 v[32:33], v[30:31], s[92:93]
	v_add_f64 v[18:19], v[30:31], -v[18:19]
	v_fma_f64 v[34:35], v[30:31], s[92:93], -v[32:33]
	v_add_f64 v[12:13], v[12:13], -v[18:19]
	v_fma_f64 v[18:19], v[30:31], s[98:99], v[34:35]
	v_fma_f64 v[18:19], v[12:13], s[92:93], v[18:19]
	v_add_f64 v[12:13], v[32:33], v[18:19]
	v_add_f64 v[30:31], v[12:13], -v[32:33]
	v_add_f64 v[32:33], v[18:19], -v[30:31]
	s_andn2_saveexec_b32 s1, s1
	s_cbranch_execnz .LBB1_124
	s_branch .LBB1_125
.LBB1_123:                              ;   in Loop: Header=BB1_93 Depth=3
	s_andn2_saveexec_b32 s1, s1
	s_cbranch_execz .LBB1_125
.LBB1_124:                              ;   in Loop: Header=BB1_93 Depth=3
	v_mul_f64 v[12:13], |v[113:114]|, s[6:7]
	s_mov_b32 s96, s16
	v_rndne_f64_e32 v[18:19], v[12:13]
	v_fma_f64 v[12:13], v[18:19], s[94:95], |v[113:114]|
	v_mul_f64 v[30:31], v[18:19], s[16:17]
	v_cvt_i32_f64_e32 v27, v[18:19]
	v_fma_f64 v[34:35], v[18:19], s[16:17], v[12:13]
	v_add_f64 v[32:33], v[12:13], v[30:31]
	v_add_f64 v[12:13], v[12:13], -v[32:33]
	v_add_f64 v[32:33], v[32:33], -v[34:35]
	v_add_f64 v[12:13], v[12:13], v[30:31]
	v_fma_f64 v[30:31], v[18:19], s[96:97], v[30:31]
	v_add_f64 v[12:13], v[32:33], v[12:13]
	v_add_f64 v[12:13], v[12:13], -v[30:31]
	v_fma_f64 v[30:31], v[18:19], s[10:11], v[12:13]
	v_add_f64 v[12:13], v[34:35], v[30:31]
	v_add_f64 v[32:33], v[12:13], -v[34:35]
	v_add_f64 v[32:33], v[30:31], -v[32:33]
.LBB1_125:                              ;   in Loop: Header=BB1_93 Depth=3
	s_or_b32 exec_lo, exec_lo, s1
	s_clause 0x1
	buffer_load_dword v2, off, s[100:103], 0
	buffer_load_dword v3, off, s[100:103], 0 offset:4
	v_mul_f64 v[6:7], v[6:7], v[98:99]
	s_mov_b32 vcc_lo, s52
	s_mov_b32 s48, s50
	v_fma_f64 v[36:37], v[78:79], vcc, v[65:66]
	v_add_f64 v[34:35], v[92:93], v[92:93]
	v_fma_f64 v[18:19], v[76:77], s[64:65], v[69:70]
	s_mov_b32 s46, s52
	s_mov_b32 s4, s24
	v_lshlrev_b32_e32 v4, 30, v40
	v_fma_f64 v[38:39], v[74:75], s[64:65], v[22:23]
	s_mov_b32 s54, s56
	v_xor_b32_e32 v4, v4, v91
	v_and_b32_e32 v4, 0x80000000, v4
	v_fma_f64 v[43:44], v[100:101], s[48:49], v[36:37]
	v_fma_f64 v[18:19], 0x40040000, v[94:95], v[18:19]
	;; [unrolled: 1-line block ×4, first 2 shown]
	s_waitcnt vmcnt(0)
	v_fma_f64 v[30:31], v[48:49], s[72:73], v[2:3]
	s_clause 0x1
	buffer_load_dword v2, off, s[100:103], 0 offset:8
	buffer_load_dword v3, off, s[100:103], 0 offset:12
	v_fma_f64 v[41:42], 0x3fd5e000, v[88:89], v[30:31]
	v_div_scale_f64 v[30:31], null, v[6:7], v[6:7], 1.0
	v_rcp_f64_e32 v[36:37], v[30:31]
	v_fma_f64 v[45:46], -v[30:31], v[36:37], 1.0
	v_fma_f64 v[36:37], v[36:37], v[45:46], v[36:37]
	v_fma_f64 v[45:46], -v[30:31], v[36:37], 1.0
	v_fma_f64 v[36:37], v[36:37], v[45:46], v[36:37]
	v_div_scale_f64 v[45:46], vcc_lo, 1.0, v[6:7], 1.0
	v_mul_f64 v[52:53], v[45:46], v[36:37]
	v_fma_f64 v[30:31], -v[30:31], v[52:53], v[45:46]
	v_div_fmas_f64 v[30:31], v[30:31], v[36:37], v[52:53]
	v_add_f64 v[52:53], v[0:1], v[0:1]
	v_div_fixup_f64 v[36:37], v[30:31], v[6:7], 1.0
	v_add_f64 v[6:7], v[8:9], v[102:103]
	v_mul_f64 v[0:1], v[0:1], v[52:53]
	v_mul_f64 v[52:53], v[125:126], 0.5
	v_mul_f64 v[30:31], v[34:35], v[6:7]
	v_add_f64 v[6:7], v[92:93], -1.0
	v_mul_f64 v[0:1], v[6:7], v[0:1]
	v_mul_f64 v[0:1], v[0:1], v[104:105]
	s_waitcnt vmcnt(0)
	v_fma_f64 v[45:46], -v[2:3], v[6:7], v[30:31]
	s_clause 0x1
	buffer_load_dword v2, off, s[100:103], 0 offset:16
	buffer_load_dword v3, off, s[100:103], 0 offset:20
	v_fma_f64 v[6:7], v[80:81], s[74:75], v[41:42]
	v_mul_f64 v[41:42], v[123:124], v[123:124]
	v_fma_f64 v[57:58], v[41:42], s[14:15], s[12:13]
	v_mul_f64 v[54:55], v[41:42], v[41:42]
	v_fma_f64 v[57:58], v[41:42], v[57:58], s[18:19]
	v_fma_f64 v[57:58], v[41:42], v[57:58], s[20:21]
	;; [unrolled: 1-line block ×3, first 2 shown]
	s_waitcnt vmcnt(0)
	v_add_f64 v[45:46], v[45:46], -v[2:3]
	v_and_b32_e32 v2, 1, v40
	v_cmp_eq_u32_e32 vcc_lo, 0, v2
	v_fma_f64 v[45:46], v[45:46], v[36:37], -v[0:1]
	v_fma_f64 v[0:1], v[84:85], s[56:57], v[18:19]
	v_mul_f64 v[88:89], v[50:51], -v[45:46]
	v_fma_f64 v[45:46], v[41:42], s[28:29], s[26:27]
	v_fma_f64 v[18:19], v[88:89], s[46:47], v[43:44]
	v_fma_f64 v[45:46], v[41:42], v[45:46], s[30:31]
	v_mul_f64 v[43:44], v[123:124], -v[41:42]
	v_fma_f64 v[45:46], v[41:42], v[45:46], s[34:35]
	v_fma_f64 v[45:46], v[41:42], v[45:46], s[36:37]
	v_fma_f64 v[45:46], v[43:44], v[45:46], v[52:53]
	v_fma_f64 v[45:46], v[41:42], v[45:46], -v[125:126]
	v_fma_f64 v[43:44], v[43:44], s[4:5], v[45:46]
	v_mul_f64 v[45:46], v[41:42], 0.5
	v_fma_f64 v[41:42], v[41:42], v[57:58], s[24:25]
	v_add_f64 v[43:44], v[123:124], -v[43:44]
	v_add_f64 v[52:53], -v[45:46], 1.0
	v_add_f64 v[57:58], -v[52:53], 1.0
	v_add_f64 v[45:46], v[57:58], -v[45:46]
	v_fma_f64 v[45:46], v[123:124], -v[125:126], v[45:46]
	v_fma_f64 v[41:42], v[54:55], v[41:42], v[45:46]
	v_add_f64 v[41:42], v[52:53], v[41:42]
	v_cndmask_b32_e32 v3, v42, v44, vcc_lo
	v_cndmask_b32_e32 v2, v41, v43, vcc_lo
	v_fma_f64 v[44:45], v[108:109], -2.0, v[110:111]
	v_xor_b32_e32 v3, v3, v4
	v_cndmask_b32_e64 v40, 0, v2, s0
	v_lshlrev_b32_e32 v4, 30, v27
	v_cndmask_b32_e64 v41, 0x7ff80000, v3, s0
	v_mov_b32_e32 v2, v20
	v_mov_b32_e32 v3, v21
	v_cmp_class_f64_e64 s0, v[113:114], 0x1f8
	v_and_b32_e32 v4, 0x80000000, v4
	v_mul_f64 v[42:43], v[40:41], v[40:41]
	v_cmp_gt_f64_e32 vcc_lo, s[40:41], v[40:41]
	v_add_f64 v[52:53], v[8:9], v[44:45]
	v_cndmask_b32_e64 v43, v43, 0x3c9cd2b2, vcc_lo
	v_cndmask_b32_e64 v42, v42, 0x97d889bc, vcc_lo
	;; [unrolled: 1-line block ×4, first 2 shown]
	v_mul_f64 v[10:11], -v[40:41], v[10:11]
	v_mul_f64 v[40:41], v[42:43], v[42:43]
	v_mul_f64 v[44:45], v[52:53], -v[18:19]
	v_div_scale_f64 v[46:47], null, v[40:41], v[40:41], v[2:3]
	v_mul_f64 v[44:45], v[44:45], v[121:122]
	v_rcp_f64_e32 v[54:55], v[46:47]
	v_mul_f64 v[92:93], v[50:51], v[44:45]
	v_fma_f64 v[57:58], -v[46:47], v[54:55], 1.0
	v_fma_f64 v[123:124], v[92:93], s[54:55], v[0:1]
	v_fma_f64 v[0:1], v[86:87], s[76:77], v[6:7]
	;; [unrolled: 1-line block ×3, first 2 shown]
	v_fma_f64 v[57:58], -v[46:47], v[54:55], 1.0
	v_fma_f64 v[54:55], v[54:55], v[57:58], v[54:55]
	v_div_scale_f64 v[57:58], vcc_lo, v[2:3], v[40:41], v[2:3]
	v_mul_f64 v[90:91], v[57:58], v[54:55]
	v_fma_f64 v[46:47], -v[46:47], v[90:91], v[57:58]
                                        ; implicit-def: $vgpr58
	v_div_fmas_f64 v[46:47], v[46:47], v[54:55], v[90:91]
	v_div_fixup_f64 v[40:41], v[46:47], v[40:41], v[2:3]
	v_and_b32_e32 v3, 1, v27
	v_cmp_eq_u32_e32 vcc_lo, 0, v3
	v_add_f64 v[40:41], v[40:41], -v[8:9]
	v_mul_f64 v[10:11], v[40:41], v[10:11]
	v_mul_f64 v[10:11], v[10:11], v[121:122]
	;; [unrolled: 1-line block ×4, first 2 shown]
	v_fma_f64 v[40:41], v[90:91], s[54:55], v[38:39]
	v_mul_f64 v[6:7], v[10:11], 0.5
	v_fma_f64 v[46:47], v[10:11], s[14:15], s[12:13]
	v_add_f64 v[38:39], -v[6:7], 1.0
	v_fma_f64 v[46:47], v[10:11], v[46:47], s[18:19]
	v_add_f64 v[44:45], -v[38:39], 1.0
	v_fma_f64 v[46:47], v[10:11], v[46:47], s[20:21]
	v_add_f64 v[6:7], v[44:45], -v[6:7]
	v_fma_f64 v[46:47], v[10:11], v[46:47], s[22:23]
	v_mul_f64 v[44:45], v[10:11], v[10:11]
	v_fma_f64 v[6:7], v[12:13], -v[32:33], v[6:7]
	v_fma_f64 v[46:47], v[10:11], v[46:47], s[24:25]
	v_fma_f64 v[6:7], v[44:45], v[46:47], v[6:7]
	v_mul_f64 v[44:45], v[12:13], -v[10:11]
	v_mul_f64 v[46:47], v[32:33], 0.5
	v_add_f64 v[6:7], v[38:39], v[6:7]
	v_fma_f64 v[38:39], v[10:11], s[28:29], s[26:27]
	v_fma_f64 v[38:39], v[10:11], v[38:39], s[30:31]
	;; [unrolled: 1-line block ×5, first 2 shown]
	v_fma_f64 v[10:11], v[10:11], v[38:39], -v[32:33]
	v_fma_f64 v[10:11], v[44:45], s[4:5], v[10:11]
	v_add_f64 v[10:11], v[12:13], -v[10:11]
	v_xor_b32_e32 v2, 0x80000000, v11
	v_cndmask_b32_e32 v3, v10, v6, vcc_lo
	v_mul_f64 v[10:11], v[123:124], v[123:124]
	v_cndmask_b32_e32 v2, v2, v7, vcc_lo
	v_cndmask_b32_e64 v38, 0, v3, s0
	v_xor_b32_e32 v2, v2, v4
	v_cndmask_b32_e64 v39, 0x7ff80000, v2, s0
	v_mul_f64 v[6:7], v[38:39], v[38:39]
	v_fma_f64 v[6:7], v[8:9], v[6:7], v[10:11]
	v_div_scale_f64 v[12:13], null, v[6:7], v[6:7], 1.0
	v_rcp_f64_e32 v[32:33], v[12:13]
	v_fma_f64 v[44:45], -v[12:13], v[32:33], 1.0
	v_fma_f64 v[32:33], v[32:33], v[44:45], v[32:33]
	v_fma_f64 v[44:45], -v[12:13], v[32:33], 1.0
	v_fma_f64 v[32:33], v[32:33], v[44:45], v[32:33]
	v_div_scale_f64 v[44:45], vcc_lo, 1.0, v[6:7], 1.0
	v_mul_f64 v[46:47], v[44:45], v[32:33]
	v_fma_f64 v[12:13], -v[12:13], v[46:47], v[44:45]
	v_div_fmas_f64 v[12:13], v[12:13], v[32:33], v[46:47]
                                        ; implicit-def: $vgpr32_vgpr33
	v_div_fixup_f64 v[44:45], v[12:13], v[6:7], 1.0
	v_mul_f64 v[12:13], v[44:45], -v[40:41]
	v_mul_f64 v[46:47], v[50:51], v[12:13]
                                        ; implicit-def: $vgpr12_vgpr13
	v_fma_f64 v[125:126], 0x3fafa000, v[46:47], v[0:1]
	v_cmp_ngt_f64_e64 s1, 0x41d00000, |v[125:126]|
	v_trig_preop_f64 v[112:113], |v[125:126]|, 0
	v_trig_preop_f64 v[104:105], |v[125:126]|, 1
	v_ldexp_f64 v[54:55], |v[125:126]|, 0xffffff80
	v_trig_preop_f64 v[102:103], |v[125:126]|, 2
	v_and_b32_e32 v59, 0x7fffffff, v126
	s_and_saveexec_b32 s4, s1
	s_xor_b32 s4, exec_lo, s4
	s_cbranch_execz .LBB1_127
; %bb.126:                              ;   in Loop: Header=BB1_93 Depth=3
	v_cmp_le_f64_e64 vcc_lo, 0x7b000000, |v[125:126]|
	s_mov_b32 s92, s94
	s_mov_b32 s99, s97
	v_cndmask_b32_e32 v1, v59, v55, vcc_lo
	v_cndmask_b32_e32 v0, v125, v54, vcc_lo
	v_mul_f64 v[32:33], v[112:113], v[0:1]
	v_mul_f64 v[12:13], v[104:105], v[0:1]
	v_fma_f64 v[40:41], v[112:113], v[0:1], -v[32:33]
	v_add_f64 v[57:58], v[12:13], v[40:41]
	v_add_f64 v[4:5], v[57:58], -v[12:13]
	v_add_f64 v[60:61], v[32:33], v[57:58]
	v_add_f64 v[40:41], v[40:41], -v[4:5]
	v_add_f64 v[4:5], v[57:58], -v[4:5]
	;; [unrolled: 1-line block ×3, first 2 shown]
	v_ldexp_f64 v[27:28], v[60:61], -2
	v_add_f64 v[4:5], v[12:13], -v[4:5]
	v_fma_f64 v[12:13], v[104:105], v[0:1], -v[12:13]
	v_add_f64 v[32:33], v[57:58], -v[32:33]
	v_fract_f64_e32 v[2:3], v[27:28]
	v_cmp_neq_f64_e64 vcc_lo, 0x7ff00000, |v[27:28]|
	v_add_f64 v[4:5], v[40:41], v[4:5]
	v_mul_f64 v[40:41], v[102:103], v[0:1]
	v_ldexp_f64 v[2:3], v[2:3], 2
	v_add_f64 v[16:17], v[40:41], v[12:13]
	v_fma_f64 v[0:1], v[102:103], v[0:1], -v[40:41]
	v_cndmask_b32_e32 v3, 0, v3, vcc_lo
	v_cndmask_b32_e32 v2, 0, v2, vcc_lo
	v_add_f64 v[14:15], v[16:17], v[4:5]
	v_add_f64 v[57:58], v[32:33], v[14:15]
	v_add_f64 v[60:61], v[14:15], -v[16:17]
	v_add_f64 v[32:33], v[57:58], -v[32:33]
	;; [unrolled: 1-line block ×6, first 2 shown]
	v_add_f64 v[4:5], v[4:5], v[14:15]
	v_add_f64 v[14:15], v[16:17], -v[40:41]
	v_add_f64 v[12:13], v[12:13], -v[14:15]
	v_add_f64 v[14:15], v[16:17], -v[14:15]
	v_add_f64 v[14:15], v[40:41], -v[14:15]
	v_add_f64 v[12:13], v[12:13], v[14:15]
	v_add_f64 v[4:5], v[12:13], v[4:5]
	;; [unrolled: 1-line block ×5, first 2 shown]
	v_cmp_gt_f64_e32 vcc_lo, 0, v[4:5]
	v_cndmask_b32_e64 v27, 0, 0x40100000, vcc_lo
	v_add_f64 v[2:3], v[2:3], v[26:27]
	v_add_f64 v[4:5], v[57:58], v[2:3]
	v_cvt_i32_f64_e32 v12, v[4:5]
	v_cvt_f64_i32_e32 v[4:5], v12
	v_add_f64 v[2:3], v[2:3], -v[4:5]
	v_add_f64 v[4:5], v[57:58], v[2:3]
	v_add_f64 v[2:3], v[4:5], -v[2:3]
	v_cmp_le_f64_e32 vcc_lo, 0.5, v[4:5]
	v_add_f64 v[2:3], v[57:58], -v[2:3]
	v_cndmask_b32_e64 v27, 0, 0x3ff00000, vcc_lo
	v_add_co_ci_u32_e64 v58, null, 0, v12, vcc_lo
	v_add_f64 v[0:1], v[0:1], v[2:3]
	v_add_f64 v[2:3], v[4:5], -v[26:27]
	v_add_f64 v[4:5], v[2:3], v[0:1]
	v_add_f64 v[2:3], v[4:5], -v[2:3]
	v_add_f64 v[0:1], v[0:1], -v[2:3]
	v_mul_f64 v[2:3], v[4:5], s[92:93]
	v_fma_f64 v[12:13], v[4:5], s[92:93], -v[2:3]
	v_fma_f64 v[4:5], v[4:5], s[98:99], v[12:13]
	v_fma_f64 v[0:1], v[0:1], s[92:93], v[4:5]
	v_add_f64 v[32:33], v[2:3], v[0:1]
	v_add_f64 v[2:3], v[32:33], -v[2:3]
	v_add_f64 v[12:13], v[0:1], -v[2:3]
	s_andn2_saveexec_b32 s4, s4
	s_cbranch_execz .LBB1_129
	s_branch .LBB1_128
.LBB1_127:                              ;   in Loop: Header=BB1_93 Depth=3
	s_andn2_saveexec_b32 s4, s4
	s_cbranch_execz .LBB1_129
.LBB1_128:                              ;   in Loop: Header=BB1_93 Depth=3
	v_mul_f64 v[0:1], |v[125:126]|, s[6:7]
	s_mov_b32 s96, s16
	v_rndne_f64_e32 v[0:1], v[0:1]
	v_fma_f64 v[12:13], v[0:1], s[94:95], |v[125:126]|
	v_mul_f64 v[32:33], v[0:1], s[16:17]
	v_fma_f64 v[57:58], v[0:1], s[16:17], v[12:13]
	v_add_f64 v[40:41], v[12:13], v[32:33]
	v_add_f64 v[12:13], v[12:13], -v[40:41]
	v_add_f64 v[40:41], v[40:41], -v[57:58]
	v_add_f64 v[12:13], v[12:13], v[32:33]
	v_fma_f64 v[32:33], v[0:1], s[96:97], v[32:33]
	v_add_f64 v[12:13], v[40:41], v[12:13]
	v_add_f64 v[12:13], v[12:13], -v[32:33]
	v_fma_f64 v[12:13], v[0:1], s[10:11], v[12:13]
	v_add_f64 v[32:33], v[57:58], v[12:13]
	v_add_f64 v[40:41], v[32:33], -v[57:58]
	v_cvt_i32_f64_e32 v58, v[0:1]
	v_add_f64 v[12:13], v[12:13], -v[40:41]
.LBB1_129:                              ;   in Loop: Header=BB1_93 Depth=3
	s_or_b32 exec_lo, exec_lo, s4
                                        ; implicit-def: $vgpr57
                                        ; implicit-def: $vgpr0_vgpr1
                                        ; implicit-def: $vgpr40_vgpr41
	s_and_saveexec_b32 s4, s1
	s_xor_b32 s1, exec_lo, s4
	s_cbranch_execz .LBB1_131
; %bb.130:                              ;   in Loop: Header=BB1_93 Depth=3
	v_cmp_le_f64_e64 vcc_lo, 0x7b000000, |v[125:126]|
	s_mov_b32 s92, s94
	s_mov_b32 s99, s97
	v_cndmask_b32_e32 v1, v59, v55, vcc_lo
	v_cndmask_b32_e32 v0, v125, v54, vcc_lo
	v_mul_f64 v[4:5], v[112:113], v[0:1]
	v_mul_f64 v[2:3], v[104:105], v[0:1]
	v_fma_f64 v[14:15], v[112:113], v[0:1], -v[4:5]
	v_add_f64 v[16:17], v[2:3], v[14:15]
	v_add_f64 v[59:60], v[16:17], -v[2:3]
	v_add_f64 v[27:28], v[4:5], v[16:17]
	v_add_f64 v[14:15], v[14:15], -v[59:60]
	v_add_f64 v[59:60], v[16:17], -v[59:60]
	v_ldexp_f64 v[40:41], v[27:28], -2
	v_add_f64 v[4:5], v[27:28], -v[4:5]
	v_add_f64 v[59:60], v[2:3], -v[59:60]
	v_fma_f64 v[2:3], v[104:105], v[0:1], -v[2:3]
	v_add_f64 v[4:5], v[16:17], -v[4:5]
	v_fract_f64_e32 v[54:55], v[40:41]
	v_cmp_neq_f64_e64 vcc_lo, 0x7ff00000, |v[40:41]|
	v_add_f64 v[14:15], v[14:15], v[59:60]
	v_mul_f64 v[59:60], v[102:103], v[0:1]
	v_add_f64 v[104:105], v[59:60], v[2:3]
	v_fma_f64 v[0:1], v[102:103], v[0:1], -v[59:60]
	v_add_f64 v[112:113], v[104:105], v[14:15]
	v_add_f64 v[27:28], v[112:113], -v[104:105]
	v_add_f64 v[16:17], v[4:5], v[112:113]
	v_add_f64 v[14:15], v[14:15], -v[27:28]
	v_add_f64 v[27:28], v[112:113], -v[27:28]
	;; [unrolled: 1-line block ×5, first 2 shown]
	v_add_f64 v[14:15], v[14:15], v[27:28]
	v_add_f64 v[27:28], v[104:105], -v[59:60]
	v_add_f64 v[2:3], v[2:3], -v[27:28]
	;; [unrolled: 1-line block ×4, first 2 shown]
	v_add_f64 v[2:3], v[2:3], v[27:28]
	v_add_f64 v[2:3], v[2:3], v[14:15]
	;; [unrolled: 1-line block ×3, first 2 shown]
	v_ldexp_f64 v[2:3], v[54:55], 2
	v_add_f64 v[0:1], v[4:5], v[0:1]
	v_cndmask_b32_e32 v3, 0, v3, vcc_lo
	v_cndmask_b32_e32 v2, 0, v2, vcc_lo
	v_add_f64 v[4:5], v[16:17], v[2:3]
	v_cmp_gt_f64_e32 vcc_lo, 0, v[4:5]
	v_cndmask_b32_e64 v27, 0, 0x40100000, vcc_lo
	v_add_f64 v[2:3], v[2:3], v[26:27]
	v_add_f64 v[4:5], v[16:17], v[2:3]
	v_cvt_i32_f64_e32 v14, v[4:5]
	v_cvt_f64_i32_e32 v[4:5], v14
	v_add_f64 v[2:3], v[2:3], -v[4:5]
	v_add_f64 v[4:5], v[16:17], v[2:3]
	v_add_f64 v[2:3], v[4:5], -v[2:3]
	v_cmp_le_f64_e32 vcc_lo, 0.5, v[4:5]
	v_add_f64 v[2:3], v[16:17], -v[2:3]
	v_cndmask_b32_e64 v27, 0, 0x3ff00000, vcc_lo
	v_add_co_ci_u32_e64 v57, null, 0, v14, vcc_lo
	v_add_f64 v[0:1], v[0:1], v[2:3]
	v_add_f64 v[2:3], v[4:5], -v[26:27]
	v_add_f64 v[4:5], v[2:3], v[0:1]
	v_add_f64 v[2:3], v[4:5], -v[2:3]
	v_add_f64 v[0:1], v[0:1], -v[2:3]
	v_mul_f64 v[2:3], v[4:5], s[92:93]
	v_fma_f64 v[14:15], v[4:5], s[92:93], -v[2:3]
	v_fma_f64 v[4:5], v[4:5], s[98:99], v[14:15]
	v_fma_f64 v[4:5], v[0:1], s[92:93], v[4:5]
	v_add_f64 v[0:1], v[2:3], v[4:5]
	v_add_f64 v[2:3], v[0:1], -v[2:3]
	v_add_f64 v[40:41], v[4:5], -v[2:3]
	s_andn2_saveexec_b32 s1, s1
	s_cbranch_execnz .LBB1_132
	s_branch .LBB1_133
.LBB1_131:                              ;   in Loop: Header=BB1_93 Depth=3
	s_andn2_saveexec_b32 s1, s1
	s_cbranch_execz .LBB1_133
.LBB1_132:                              ;   in Loop: Header=BB1_93 Depth=3
	v_mul_f64 v[0:1], |v[125:126]|, s[6:7]
	s_mov_b32 s96, s16
	v_rndne_f64_e32 v[2:3], v[0:1]
	v_fma_f64 v[0:1], v[2:3], s[94:95], |v[125:126]|
	v_mul_f64 v[4:5], v[2:3], s[16:17]
	v_cvt_i32_f64_e32 v57, v[2:3]
	v_fma_f64 v[16:17], v[2:3], s[16:17], v[0:1]
	v_add_f64 v[14:15], v[0:1], v[4:5]
	v_add_f64 v[0:1], v[0:1], -v[14:15]
	v_add_f64 v[14:15], v[14:15], -v[16:17]
	v_add_f64 v[0:1], v[0:1], v[4:5]
	v_fma_f64 v[4:5], v[2:3], s[96:97], v[4:5]
	v_add_f64 v[0:1], v[14:15], v[0:1]
	v_add_f64 v[0:1], v[0:1], -v[4:5]
	v_fma_f64 v[4:5], v[2:3], s[10:11], v[0:1]
	v_add_f64 v[0:1], v[16:17], v[4:5]
	v_add_f64 v[14:15], v[0:1], -v[16:17]
	v_add_f64 v[40:41], v[4:5], -v[14:15]
.LBB1_133:                              ;   in Loop: Header=BB1_93 Depth=3
	s_or_b32 exec_lo, exec_lo, s1
	s_clause 0x1
	buffer_load_dword v24, off, s[100:103], 0 offset:56
	buffer_load_dword v25, off, s[100:103], 0 offset:60
	v_add_f64 v[98:99], v[98:99], -v[34:35]
	v_mov_b32_e32 v72, v66
	v_fma_f64 v[4:5], v[78:79], s[64:65], v[65:66]
	v_mov_b32_e32 v71, v65
	v_add_f64 v[2:3], v[108:109], v[108:109]
	v_mul_f64 v[59:60], v[78:79], s[78:79]
	v_mul_f64 v[112:113], v[74:75], s[78:79]
	v_mul_f64 v[14:15], v[76:77], s[78:79]
	v_mul_f64 v[16:17], v[48:49], s[78:79]
	s_mov_b32 s54, s56
	s_mov_b32 s4, s24
	;; [unrolled: 1-line block ×3, first 2 shown]
	s_mov_b32 s1, -1
	v_fma_f64 v[4:5], 0x40040000, v[100:101], v[4:5]
	v_fma_f64 v[14:15], v[84:85], s[80:81], -v[14:15]
	v_fma_f64 v[16:17], v[80:81], s[80:81], -v[16:17]
	v_fma_f64 v[4:5], v[88:89], s[56:57], v[4:5]
	s_waitcnt vmcnt(0)
	v_mul_f64 v[104:105], v[24:25], v[50:51]
	s_clause 0x1
	buffer_load_dword v24, off, s[100:103], 0 offset:48
	buffer_load_dword v25, off, s[100:103], 0 offset:52
	v_mul_f64 v[27:28], v[104:105], s[78:79]
	s_waitcnt vmcnt(0)
	v_mul_f64 v[24:25], v[50:51], -v[24:25]
	buffer_store_dword v24, off, s[100:103], 0 offset:128 ; 4-byte Folded Spill
	buffer_store_dword v25, off, s[100:103], 0 offset:132 ; 4-byte Folded Spill
	s_clause 0x1
	buffer_load_dword v102, off, s[100:103], 0 offset:32
	buffer_load_dword v103, off, s[100:103], 0 offset:36
	v_mul_f64 v[54:55], v[24:25], s[78:79]
	v_mul_f64 v[24:25], s[8:9], v[34:35]
	s_waitcnt vmcnt(0)
	v_mul_f64 v[98:99], v[102:103], v[98:99]
	v_fma_f64 v[24:25], -v[102:103], v[24:25], v[30:31]
	v_div_scale_f64 v[61:62], null, v[106:107], v[106:107], v[98:99]
	v_mul_f64 v[29:30], v[52:53], v[119:120]
	v_fma_f64 v[24:25], v[24:25], v[36:37], 1.0
	v_rcp_f64_e32 v[63:64], v[61:62]
	v_fma_f64 v[65:66], -v[61:62], v[63:64], 1.0
	v_fma_f64 v[63:64], v[63:64], v[65:66], v[63:64]
	v_fma_f64 v[65:66], -v[61:62], v[63:64], 1.0
	v_fma_f64 v[63:64], v[63:64], v[65:66], v[63:64]
	v_div_scale_f64 v[65:66], vcc_lo, v[98:99], v[106:107], v[98:99]
	v_mul_f64 v[67:68], v[65:66], v[63:64]
	v_fma_f64 v[61:62], -v[61:62], v[67:68], v[65:66]
	v_div_fmas_f64 v[61:62], v[61:62], v[63:64], v[67:68]
	v_div_fixup_f64 v[61:62], v[61:62], v[106:107], v[98:99]
	v_mul_f64 v[106:107], v[50:51], -v[24:25]
	v_fma_f64 v[34:35], s[8:9], v[34:35], v[61:62]
	v_fma_f64 v[24:25], v[106:107], s[80:81], -v[54:55]
	v_fma_f64 v[54:55], v[88:89], s[80:81], -v[59:60]
	;; [unrolled: 1-line block ×3, first 2 shown]
	v_mul_f64 v[34:35], v[36:37], -v[34:35]
	v_mul_f64 v[98:99], v[50:51], v[34:35]
	v_div_scale_f64 v[34:35], null, v[29:30], v[29:30], 1.0
	v_fma_f64 v[27:28], v[98:99], s[80:81], -v[27:28]
	v_rcp_f64_e32 v[36:37], v[34:35]
	v_fma_f64 v[52:53], -v[34:35], v[36:37], 1.0
	v_fma_f64 v[36:37], v[36:37], v[52:53], v[36:37]
	v_fma_f64 v[52:53], -v[34:35], v[36:37], 1.0
	v_fma_f64 v[36:37], v[36:37], v[52:53], v[36:37]
	v_div_scale_f64 v[52:53], vcc_lo, 1.0, v[29:30], 1.0
	v_mul_f64 v[61:62], v[52:53], v[36:37]
	v_fma_f64 v[34:35], -v[34:35], v[61:62], v[52:53]
	v_div_fmas_f64 v[34:35], v[34:35], v[36:37], v[61:62]
	v_add_f64 v[36:37], v[119:120], -v[2:3]
	v_div_fixup_f64 v[29:30], v[34:35], v[29:30], 1.0
	v_mul_f64 v[36:37], v[102:103], v[36:37]
	v_mul_f64 v[34:35], s[8:9], v[2:3]
	v_div_scale_f64 v[52:53], null, v[42:43], v[42:43], v[36:37]
	v_rcp_f64_e32 v[61:62], v[52:53]
	v_fma_f64 v[63:64], -v[52:53], v[61:62], 1.0
	v_fma_f64 v[61:62], v[61:62], v[63:64], v[61:62]
	v_fma_f64 v[63:64], -v[52:53], v[61:62], 1.0
	v_fma_f64 v[61:62], v[61:62], v[63:64], v[61:62]
	v_div_scale_f64 v[63:64], vcc_lo, v[36:37], v[42:43], v[36:37]
	v_mul_f64 v[65:66], v[63:64], v[61:62]
	v_fma_f64 v[52:53], -v[52:53], v[65:66], v[63:64]
	v_div_fmas_f64 v[52:53], v[52:53], v[61:62], v[65:66]
	v_mov_b32_e32 v65, v71
	v_mov_b32_e32 v66, v72
	s_clause 0x3
	buffer_load_dword v71, off, s[100:103], 0 offset:8
	buffer_load_dword v72, off, s[100:103], 0 offset:12
	;; [unrolled: 1-line block ×4, first 2 shown]
	v_div_fixup_f64 v[36:37], v[52:53], v[42:43], v[36:37]
	v_add_f64 v[42:43], v[8:9], v[110:111]
	v_fma_f64 v[36:37], s[8:9], v[2:3], v[36:37]
	v_mul_f64 v[2:3], v[2:3], v[42:43]
	v_add_f64 v[42:43], v[18:19], v[18:19]
	v_mul_f64 v[36:37], v[29:30], -v[36:37]
	v_fma_f64 v[34:35], -v[102:103], v[34:35], v[2:3]
	v_mul_f64 v[18:19], v[18:19], v[42:43]
	v_fma_f64 v[42:43], v[86:87], s[82:83], v[16:17]
	v_mul_f64 v[16:17], v[117:118], 0.5
	v_fma_f64 v[52:53], v[34:35], v[29:30], 1.0
	v_add_f64 v[34:35], v[108:109], -1.0
	v_mul_f64 v[108:109], v[50:51], v[36:37]
	v_mul_f64 v[110:111], v[50:51], -v[52:53]
	v_mul_f64 v[18:19], v[34:35], v[18:19]
	v_fma_f64 v[52:53], v[90:91], s[82:83], v[59:60]
	v_fma_f64 v[36:37], v[110:111], s[82:83], v[24:25]
	v_mul_f64 v[18:19], v[18:19], v[121:122]
	v_mov_b32_e32 v122, v21
	v_mov_b32_e32 v121, v20
	s_clause 0x1
	buffer_load_dword v20, off, s[100:103], 0 offset:80
	buffer_load_dword v21, off, s[100:103], 0 offset:84
	s_waitcnt vmcnt(4)
	v_fma_f64 v[2:3], -v[71:72], v[34:35], v[2:3]
	v_fma_f64 v[34:35], v[108:109], s[82:83], v[27:28]
	s_waitcnt vmcnt(2)
	v_add_f64 v[2:3], v[2:3], -v[67:68]
	v_fma_f64 v[2:3], v[2:3], v[29:30], -v[18:19]
	v_fma_f64 v[18:19], v[92:93], s[82:83], v[14:15]
	v_mul_f64 v[112:113], v[50:51], -v[2:3]
	v_and_b32_e32 v2, 1, v56
	v_cmp_eq_u32_e32 vcc_lo, 0, v2
	v_mul_f64 v[2:3], v[115:116], v[115:116]
	v_fma_f64 v[30:31], v[112:113], s[54:55], v[4:5]
	v_fma_f64 v[119:120], v[112:113], s[82:83], v[54:55]
	;; [unrolled: 1-line block ×3, first 2 shown]
	v_mul_f64 v[4:5], v[115:116], -v[2:3]
	v_fma_f64 v[27:28], v[2:3], s[14:15], s[12:13]
	v_mul_f64 v[24:25], v[2:3], v[2:3]
	v_fma_f64 v[14:15], v[2:3], v[14:15], s[30:31]
	v_fma_f64 v[27:28], v[2:3], v[27:28], s[18:19]
	;; [unrolled: 1-line block ×7, first 2 shown]
	v_fma_f64 v[14:15], v[2:3], v[14:15], -v[117:118]
	v_fma_f64 v[4:5], v[4:5], s[4:5], v[14:15]
	v_mul_f64 v[14:15], v[2:3], 0.5
	v_fma_f64 v[2:3], v[2:3], v[27:28], s[24:25]
	v_add_f64 v[4:5], v[115:116], -v[4:5]
	v_add_f64 v[16:17], -v[14:15], 1.0
	v_add_f64 v[27:28], -v[16:17], 1.0
	v_add_f64 v[14:15], v[27:28], -v[14:15]
	v_fma_f64 v[14:15], v[115:116], -v[117:118], v[14:15]
	v_mov_b32_e32 v117, v23
	v_mov_b32_e32 v116, v22
	v_fma_f64 v[2:3], v[24:25], v[2:3], v[14:15]
	v_add_f64 v[14:15], v[123:124], v[123:124]
	v_add_f64 v[2:3], v[16:17], v[2:3]
	v_fma_f64 v[16:17], v[123:124], -2.0, v[10:11]
	v_add_f64 v[10:11], v[8:9], v[10:11]
	v_cndmask_b32_e32 v2, v2, v4, vcc_lo
	v_add_f64 v[16:17], v[8:9], v[16:17]
	v_cndmask_b32_e32 v3, v3, v5, vcc_lo
	v_lshlrev_b32_e32 v4, 30, v56
	v_mul_f64 v[10:11], v[14:15], v[10:11]
	v_cndmask_b32_e64 v2, 0, v2, s0
	v_xor_b32_e32 v4, v4, v114
	v_and_b32_e32 v4, 0x80000000, v4
	v_xor_b32_e32 v3, v3, v4
	v_mul_f64 v[24:25], v[16:17], v[6:7]
	v_fma_f64 v[6:7], v[123:124], -2.0, v[6:7]
	v_cndmask_b32_e64 v3, 0x7ff80000, v3, s0
	v_mul_f64 v[16:17], v[16:17], -v[30:31]
	v_mul_f64 v[4:5], v[2:3], v[2:3]
	v_cmp_gt_f64_e64 s0, s[40:41], v[2:3]
	v_div_scale_f64 v[27:28], null, v[24:25], v[24:25], 1.0
	v_mul_f64 v[6:7], v[102:103], v[6:7]
	v_mul_f64 v[16:17], v[16:17], v[44:45]
	v_cndmask_b32_e64 v5, v5, 0x3c9cd2b2, s0
	v_cndmask_b32_e64 v4, v4, 0x97d889bc, s0
	;; [unrolled: 1-line block ×4, first 2 shown]
	v_mul_f64 v[2:3], -v[2:3], v[38:39]
	v_rcp_f64_e32 v[54:55], v[27:28]
	v_fma_f64 v[59:60], -v[27:28], v[54:55], 1.0
	v_fma_f64 v[54:55], v[54:55], v[59:60], v[54:55]
	v_fma_f64 v[59:60], -v[27:28], v[54:55], 1.0
	v_fma_f64 v[54:55], v[54:55], v[59:60], v[54:55]
	v_div_scale_f64 v[59:60], vcc_lo, 1.0, v[24:25], 1.0
	v_mul_f64 v[61:62], v[59:60], v[54:55]
	v_fma_f64 v[27:28], -v[27:28], v[61:62], v[59:60]
	v_div_fmas_f64 v[27:28], v[27:28], v[54:55], v[61:62]
	v_div_scale_f64 v[54:55], null, v[4:5], v[4:5], v[6:7]
	v_div_fixup_f64 v[24:25], v[27:28], v[24:25], 1.0
	v_rcp_f64_e32 v[59:60], v[54:55]
	v_mul_f64 v[27:28], s[8:9], v[14:15]
	v_fma_f64 v[61:62], -v[54:55], v[59:60], 1.0
	v_fma_f64 v[59:60], v[59:60], v[61:62], v[59:60]
	v_fma_f64 v[61:62], -v[54:55], v[59:60], 1.0
	v_fma_f64 v[59:60], v[59:60], v[61:62], v[59:60]
	v_div_scale_f64 v[61:62], vcc_lo, v[6:7], v[4:5], v[6:7]
	v_mul_f64 v[63:64], v[61:62], v[59:60]
	v_fma_f64 v[54:55], -v[54:55], v[63:64], v[61:62]
	v_div_fmas_f64 v[54:55], v[54:55], v[59:60], v[63:64]
	v_div_fixup_f64 v[6:7], v[54:55], v[4:5], v[6:7]
	v_add_f64 v[54:55], v[30:31], v[30:31]
	v_mul_f64 v[4:5], v[4:5], v[4:5]
	v_fma_f64 v[6:7], s[8:9], v[14:15], v[6:7]
	v_fma_f64 v[14:15], -v[102:103], v[27:28], v[10:11]
	v_add_f64 v[27:28], v[123:124], -1.0
	v_mul_f64 v[29:30], v[30:31], v[54:55]
	v_mul_f64 v[6:7], v[24:25], v[6:7]
	v_fma_f64 v[14:15], v[14:15], v[24:25], 1.0
	v_fma_f64 v[10:11], -v[71:72], v[27:28], v[10:11]
	v_mul_f64 v[27:28], v[27:28], v[29:30]
	v_mul_f64 v[6:7], v[50:51], v[6:7]
	v_add_f64 v[10:11], v[10:11], -v[67:68]
	v_mul_f64 v[27:28], v[27:28], v[44:45]
	v_fma_f64 v[34:35], v[6:7], s[88:89], v[34:35]
	v_mul_f64 v[6:7], v[50:51], v[14:15]
	v_fma_f64 v[10:11], v[10:11], v[24:25], -v[27:28]
	v_div_scale_f64 v[24:25], null, v[4:5], v[4:5], v[121:122]
	v_fma_f64 v[36:37], v[6:7], s[88:89], v[36:37]
	v_mul_f64 v[6:7], v[50:51], -v[10:11]
	v_rcp_f64_e32 v[27:28], v[24:25]
	v_fma_f64 v[10:11], v[74:75], s[72:73], v[116:117]
	v_fma_f64 v[10:11], 0x3fd5e000, v[96:97], v[10:11]
	v_fma_f64 v[29:30], -v[24:25], v[27:28], 1.0
	v_fma_f64 v[10:11], v[82:83], s[74:75], v[10:11]
	v_fma_f64 v[27:28], v[27:28], v[29:30], v[27:28]
	;; [unrolled: 1-line block ×3, first 2 shown]
	v_fma_f64 v[29:30], -v[24:25], v[27:28], 1.0
	v_fma_f64 v[27:28], v[27:28], v[29:30], v[27:28]
	v_div_scale_f64 v[29:30], vcc_lo, v[121:122], v[4:5], v[121:122]
	v_mul_f64 v[38:39], v[29:30], v[27:28]
	v_fma_f64 v[24:25], -v[24:25], v[38:39], v[29:30]
	v_div_fmas_f64 v[24:25], v[24:25], v[27:28], v[38:39]
	v_fma_f64 v[38:39], v[6:7], s[90:91], v[119:120]
	v_cmp_class_f64_e64 vcc_lo, v[125:126], 0x1f8
	v_div_fixup_f64 v[4:5], v[24:25], v[4:5], v[121:122]
	v_add_f64 v[4:5], v[4:5], -v[8:9]
	v_mul_f64 v[2:3], v[4:5], v[2:3]
	v_mul_f64 v[4:5], v[50:51], v[16:17]
	v_mul_f64 v[16:17], v[12:13], 0.5
	v_mul_f64 v[2:3], v[2:3], v[44:45]
	v_fma_f64 v[30:31], v[4:5], s[90:91], v[18:19]
	v_fma_f64 v[18:19], v[46:47], s[90:91], v[42:43]
	v_mul_f64 v[44:45], v[0:1], v[0:1]
	v_mul_f64 v[2:3], v[50:51], v[2:3]
	v_fma_f64 v[114:115], v[2:3], s[90:91], v[52:53]
	v_fma_f64 v[42:43], 0x3fafa000, v[2:3], v[10:11]
	;; [unrolled: 1-line block ×12, first 2 shown]
	v_and_b32_e32 v2, 1, v58
	v_cmp_eq_u32_e64 s0, 0, v2
	v_mul_f64 v[2:3], v[32:33], v[32:33]
	v_fma_f64 v[14:15], v[2:3], s[28:29], s[26:27]
	v_mul_f64 v[4:5], v[32:33], -v[2:3]
	v_fma_f64 v[27:28], v[2:3], s[14:15], s[12:13]
	v_mul_f64 v[24:25], v[2:3], v[2:3]
	v_fma_f64 v[14:15], v[2:3], v[14:15], s[30:31]
	v_fma_f64 v[27:28], v[2:3], v[27:28], s[18:19]
	;; [unrolled: 1-line block ×7, first 2 shown]
	v_fma_f64 v[14:15], v[2:3], v[14:15], -v[12:13]
	v_fma_f64 v[4:5], v[4:5], s[4:5], v[14:15]
	v_mul_f64 v[14:15], v[2:3], 0.5
	v_fma_f64 v[2:3], v[2:3], v[27:28], s[24:25]
	v_add_f64 v[4:5], v[32:33], -v[4:5]
	v_add_f64 v[16:17], -v[14:15], 1.0
	v_add_f64 v[27:28], -v[16:17], 1.0
	v_add_f64 v[14:15], v[27:28], -v[14:15]
	v_fma_f64 v[12:13], v[32:33], -v[12:13], v[14:15]
	v_fma_f64 v[2:3], v[24:25], v[2:3], v[12:13]
	v_add_f64 v[2:3], v[16:17], v[2:3]
	v_fma_f64 v[16:17], v[44:45], s[14:15], s[12:13]
	v_cndmask_b32_e64 v2, v2, v4, s0
	v_lshlrev_b32_e32 v4, 30, v58
	v_cndmask_b32_e64 v3, v3, v5, s0
	v_fma_f64 v[16:17], v[44:45], v[16:17], s[18:19]
	v_cndmask_b32_e32 v12, 0, v2, vcc_lo
	v_xor_b32_e32 v4, v4, v126
	v_and_b32_e32 v4, 0x80000000, v4
	v_xor_b32_e32 v3, v3, v4
	v_cndmask_b32_e32 v13, 0x7ff80000, v3, vcc_lo
	v_mul_f64 v[2:3], v[44:45], 0.5
	v_fma_f64 v[16:17], v[44:45], v[16:17], s[20:21]
	v_add_f64 v[4:5], -v[2:3], 1.0
	v_fma_f64 v[16:17], v[44:45], v[16:17], s[22:23]
	v_add_f64 v[14:15], -v[4:5], 1.0
	v_fma_f64 v[16:17], v[44:45], v[16:17], s[24:25]
	v_add_f64 v[2:3], v[14:15], -v[2:3]
	v_mul_f64 v[14:15], v[44:45], v[44:45]
	v_fma_f64 v[2:3], v[0:1], -v[40:41], v[2:3]
	v_fma_f64 v[2:3], v[14:15], v[16:17], v[2:3]
	v_mul_f64 v[14:15], v[40:41], 0.5
	v_add_f64 v[32:33], v[4:5], v[2:3]
	v_fma_f64 v[2:3], v[44:45], s[28:29], s[26:27]
	v_mul_f64 v[4:5], v[0:1], -v[44:45]
	v_fma_f64 v[2:3], v[44:45], v[2:3], s[30:31]
	v_fma_f64 v[2:3], v[44:45], v[2:3], s[34:35]
	;; [unrolled: 1-line block ×4, first 2 shown]
	v_add_f64 v[14:15], v[10:11], v[10:11]
	v_fma_f64 v[2:3], v[44:45], v[2:3], -v[40:41]
	v_fma_f64 v[2:3], v[4:5], s[4:5], v[2:3]
	v_add_f64 v[0:1], v[0:1], -v[2:3]
	v_and_b32_e32 v2, 1, v57
	v_cmp_eq_u32_e64 s0, 0, v2
	v_lshlrev_b32_e32 v2, 30, v57
	v_and_b32_e32 v2, 0x80000000, v2
	v_xor_b32_e32 v1, 0x80000000, v1
	v_cndmask_b32_e64 v0, v0, v32, s0
	v_cndmask_b32_e64 v1, v1, v33, s0
	v_cmp_gt_f64_e64 s0, s[40:41], v[12:13]
	v_xor_b32_e32 v1, v1, v2
	v_cndmask_b32_e32 v2, 0, v0, vcc_lo
	v_cndmask_b32_e32 v3, 0x7ff80000, v1, vcc_lo
	v_mul_f64 v[0:1], v[12:13], v[12:13]
	v_cndmask_b32_e64 v41, v1, 0x3c9cd2b2, s0
	v_cndmask_b32_e64 v40, v0, 0x97d889bc, s0
	v_mul_f64 v[0:1], v[2:3], v[2:3]
	v_mul_f64 v[0:1], v[8:9], v[0:1]
	v_fma_f64 v[4:5], v[10:11], v[10:11], v[0:1]
	v_fma_f64 v[0:1], v[10:11], v[10:11], -v[14:15]
	v_add_f64 v[0:1], v[8:9], v[0:1]
	v_mul_f64 v[16:17], v[0:1], v[4:5]
	v_mul_f64 v[0:1], v[0:1], -v[6:7]
	v_div_scale_f64 v[24:25], null, v[16:17], v[16:17], 1.0
	v_rcp_f64_e32 v[27:28], v[24:25]
	v_fma_f64 v[32:33], -v[24:25], v[27:28], 1.0
	v_fma_f64 v[27:28], v[27:28], v[32:33], v[27:28]
	v_fma_f64 v[32:33], -v[24:25], v[27:28], 1.0
	v_fma_f64 v[27:28], v[27:28], v[32:33], v[27:28]
	v_div_scale_f64 v[32:33], vcc_lo, 1.0, v[16:17], 1.0
	v_mul_f64 v[44:45], v[32:33], v[27:28]
	v_fma_f64 v[24:25], -v[24:25], v[44:45], v[32:33]
	v_div_fmas_f64 v[24:25], v[24:25], v[27:28], v[44:45]
	v_div_fixup_f64 v[16:17], v[24:25], v[16:17], 1.0
	v_div_scale_f64 v[24:25], null, v[4:5], v[4:5], 1.0
	v_rcp_f64_e32 v[27:28], v[24:25]
	v_fma_f64 v[32:33], -v[24:25], v[27:28], 1.0
	v_fma_f64 v[27:28], v[27:28], v[32:33], v[27:28]
	v_fma_f64 v[32:33], -v[24:25], v[27:28], 1.0
	v_fma_f64 v[27:28], v[27:28], v[32:33], v[27:28]
	v_div_scale_f64 v[32:33], vcc_lo, 1.0, v[4:5], 1.0
	v_mul_f64 v[44:45], v[32:33], v[27:28]
	v_fma_f64 v[24:25], -v[24:25], v[44:45], v[32:33]
	v_div_fmas_f64 v[24:25], v[24:25], v[27:28], v[44:45]
	v_mul_f64 v[27:28], s[8:9], v[14:15]
	v_div_fixup_f64 v[24:25], v[24:25], v[4:5], 1.0
	v_fma_f64 v[4:5], v[10:11], -2.0, v[4:5]
	v_mul_f64 v[32:33], v[0:1], v[24:25]
	v_mul_f64 v[4:5], v[102:103], v[4:5]
	v_mul_f64 v[0:1], v[24:25], -v[42:43]
	v_mul_f64 v[32:33], v[50:51], v[32:33]
	v_div_scale_f64 v[42:43], null, v[40:41], v[40:41], v[4:5]
	v_mul_f64 v[0:1], v[50:51], v[0:1]
	v_rcp_f64_e32 v[44:45], v[42:43]
	v_fma_f64 v[46:47], -v[42:43], v[44:45], 1.0
	v_fma_f64 v[44:45], v[44:45], v[46:47], v[44:45]
	v_fma_f64 v[46:47], -v[42:43], v[44:45], 1.0
	v_fma_f64 v[44:45], v[44:45], v[46:47], v[44:45]
	v_div_scale_f64 v[46:47], vcc_lo, v[4:5], v[40:41], v[4:5]
	v_mul_f64 v[52:53], v[46:47], v[44:45]
	v_fma_f64 v[42:43], -v[42:43], v[52:53], v[46:47]
	v_div_fmas_f64 v[42:43], v[42:43], v[44:45], v[52:53]
	v_div_fixup_f64 v[4:5], v[42:43], v[40:41], v[4:5]
	v_fma_f64 v[4:5], s[8:9], v[14:15], v[4:5]
	v_mul_f64 v[42:43], v[16:17], -v[4:5]
	v_fma_f64 v[4:5], v[10:11], v[10:11], v[8:9]
	v_add_f64 v[10:11], v[10:11], -1.0
	v_mul_f64 v[4:5], v[14:15], v[4:5]
	v_fma_f64 v[14:15], -v[102:103], v[27:28], v[4:5]
	v_fma_f64 v[4:5], -v[71:72], v[10:11], v[4:5]
	v_fma_f64 v[44:45], v[14:15], v[16:17], 1.0
	v_add_f64 v[14:15], v[6:7], v[6:7]
	v_add_f64 v[4:5], v[4:5], -v[67:68]
	v_mul_f64 v[6:7], v[6:7], v[14:15]
	v_mul_f64 v[6:7], v[10:11], v[6:7]
	;; [unrolled: 1-line block ×3, first 2 shown]
	v_fma_f64 v[46:47], v[4:5], v[16:17], -v[6:7]
	v_cndmask_b32_e64 v5, v13, 0x3e45798e, s0
	v_cndmask_b32_e64 v4, v12, 0xe2308c3a, s0
	s_mov_b32 s0, exec_lo
	v_mul_f64 v[2:3], -v[4:5], v[2:3]
	v_mul_f64 v[4:5], v[40:41], v[40:41]
	v_div_scale_f64 v[6:7], null, v[4:5], v[4:5], v[121:122]
	v_rcp_f64_e32 v[10:11], v[6:7]
	v_fma_f64 v[12:13], -v[6:7], v[10:11], 1.0
	v_fma_f64 v[10:11], v[10:11], v[12:13], v[10:11]
	v_fma_f64 v[12:13], -v[6:7], v[10:11], 1.0
	v_fma_f64 v[10:11], v[10:11], v[12:13], v[10:11]
	v_div_scale_f64 v[12:13], vcc_lo, v[121:122], v[4:5], v[121:122]
	v_mul_f64 v[14:15], v[12:13], v[10:11]
	v_fma_f64 v[6:7], -v[6:7], v[14:15], v[12:13]
	v_mul_f64 v[12:13], v[50:51], -v[46:47]
	v_div_fmas_f64 v[6:7], v[6:7], v[10:11], v[14:15]
	v_fma_f64 v[14:15], v[0:1], s[66:67], v[18:19]
	v_mul_f64 v[10:11], v[50:51], -v[44:45]
	v_div_fixup_f64 v[4:5], v[6:7], v[4:5], v[121:122]
	v_mul_f64 v[6:7], v[50:51], v[42:43]
	v_fma_f64 v[36:37], v[10:11], s[66:67], v[36:37]
	v_add_f64 v[4:5], v[4:5], -v[8:9]
	v_fma_f64 v[40:41], v[6:7], s[66:67], v[34:35]
	v_fma_f64 v[34:35], v[12:13], s[66:67], v[38:39]
	v_mul_f64 v[2:3], v[4:5], v[2:3]
	v_fma_f64 v[4:5], v[32:33], s[66:67], v[30:31]
	v_mul_f64 v[2:3], v[2:3], v[24:25]
	v_mul_f64 v[18:19], v[50:51], v[2:3]
	s_waitcnt vmcnt(0)
	v_div_scale_f64 v[2:3], null, v[20:21], v[20:21], v[4:5]
	v_fma_f64 v[30:31], v[18:19], s[66:67], v[114:115]
	v_rcp_f64_e32 v[16:17], v[2:3]
	v_fma_f64 v[24:25], -v[2:3], v[16:17], 1.0
	v_fma_f64 v[16:17], v[16:17], v[24:25], v[16:17]
	v_fma_f64 v[24:25], -v[2:3], v[16:17], 1.0
	v_fma_f64 v[16:17], v[16:17], v[24:25], v[16:17]
	v_div_scale_f64 v[24:25], vcc_lo, v[4:5], v[20:21], v[4:5]
	v_mul_f64 v[27:28], v[24:25], v[16:17]
	v_fma_f64 v[2:3], -v[2:3], v[27:28], v[24:25]
	v_div_fmas_f64 v[2:3], v[2:3], v[16:17], v[27:28]
	v_div_fixup_f64 v[2:3], v[2:3], v[20:21], v[4:5]
	s_clause 0x1
	buffer_load_dword v20, off, s[100:103], 0 offset:88
	buffer_load_dword v21, off, s[100:103], 0 offset:92
	v_max_f64 v[2:3], |v[2:3]|, 0
	s_waitcnt vmcnt(0)
	v_div_scale_f64 v[4:5], null, v[20:21], v[20:21], v[14:15]
	v_rcp_f64_e32 v[16:17], v[4:5]
	v_fma_f64 v[24:25], -v[4:5], v[16:17], 1.0
	v_fma_f64 v[16:17], v[16:17], v[24:25], v[16:17]
	v_fma_f64 v[24:25], -v[4:5], v[16:17], 1.0
	v_fma_f64 v[16:17], v[16:17], v[24:25], v[16:17]
	v_div_scale_f64 v[24:25], vcc_lo, v[14:15], v[20:21], v[14:15]
	v_mul_f64 v[27:28], v[24:25], v[16:17]
	v_fma_f64 v[4:5], -v[4:5], v[27:28], v[24:25]
	v_div_fmas_f64 v[4:5], v[4:5], v[16:17], v[27:28]
	v_div_fixup_f64 v[4:5], v[4:5], v[20:21], v[14:15]
	s_clause 0x1
	buffer_load_dword v20, off, s[100:103], 0 offset:96
	buffer_load_dword v21, off, s[100:103], 0 offset:100
	v_cmp_gt_f64_e64 vcc_lo, |v[4:5]|, v[2:3]
	v_and_b32_e32 v14, 0x7fffffff, v5
	v_cndmask_b32_e32 v2, v2, v4, vcc_lo
	v_cndmask_b32_e32 v3, v3, v14, vcc_lo
	s_waitcnt vmcnt(0)
	v_div_scale_f64 v[4:5], null, v[20:21], v[20:21], v[40:41]
	v_rcp_f64_e32 v[14:15], v[4:5]
	v_fma_f64 v[16:17], -v[4:5], v[14:15], 1.0
	v_fma_f64 v[14:15], v[14:15], v[16:17], v[14:15]
	v_fma_f64 v[16:17], -v[4:5], v[14:15], 1.0
	v_fma_f64 v[14:15], v[14:15], v[16:17], v[14:15]
	v_div_scale_f64 v[16:17], vcc_lo, v[40:41], v[20:21], v[40:41]
	v_mul_f64 v[24:25], v[16:17], v[14:15]
	v_fma_f64 v[4:5], -v[4:5], v[24:25], v[16:17]
	v_div_fmas_f64 v[4:5], v[4:5], v[14:15], v[24:25]
	v_div_fixup_f64 v[4:5], v[4:5], v[20:21], v[40:41]
	s_clause 0x1
	buffer_load_dword v20, off, s[100:103], 0 offset:104
	buffer_load_dword v21, off, s[100:103], 0 offset:108
	v_cmp_gt_f64_e64 vcc_lo, |v[4:5]|, v[2:3]
	v_and_b32_e32 v14, 0x7fffffff, v5
	v_cndmask_b32_e32 v2, v2, v4, vcc_lo
	v_cndmask_b32_e32 v3, v3, v14, vcc_lo
	;; [unrolled: 19-line block ×3, first 2 shown]
	s_waitcnt vmcnt(0)
	v_div_scale_f64 v[4:5], null, v[20:21], v[20:21], v[34:35]
	v_rcp_f64_e32 v[14:15], v[4:5]
	v_fma_f64 v[16:17], -v[4:5], v[14:15], 1.0
	v_fma_f64 v[14:15], v[14:15], v[16:17], v[14:15]
	v_fma_f64 v[16:17], -v[4:5], v[14:15], 1.0
	v_fma_f64 v[14:15], v[14:15], v[16:17], v[14:15]
	v_div_scale_f64 v[16:17], vcc_lo, v[34:35], v[20:21], v[34:35]
	v_mul_f64 v[24:25], v[16:17], v[14:15]
	v_fma_f64 v[4:5], -v[4:5], v[24:25], v[16:17]
	v_div_fmas_f64 v[4:5], v[4:5], v[14:15], v[24:25]
	v_div_fixup_f64 v[4:5], v[4:5], v[20:21], v[34:35]
	s_clause 0x1
	buffer_load_dword v20, off, s[100:103], 0 offset:120
	buffer_load_dword v21, off, s[100:103], 0 offset:124
                                        ; implicit-def: $vgpr34_vgpr35
	v_cmp_gt_f64_e64 vcc_lo, |v[4:5]|, v[2:3]
	v_and_b32_e32 v14, 0x7fffffff, v5
	v_cndmask_b32_e32 v2, v2, v4, vcc_lo
	v_cndmask_b32_e32 v3, v3, v14, vcc_lo
	s_waitcnt vmcnt(0)
	v_div_scale_f64 v[4:5], null, v[20:21], v[20:21], v[30:31]
	v_rcp_f64_e32 v[14:15], v[4:5]
	v_fma_f64 v[16:17], -v[4:5], v[14:15], 1.0
	v_fma_f64 v[14:15], v[14:15], v[16:17], v[14:15]
	v_fma_f64 v[16:17], -v[4:5], v[14:15], 1.0
	v_fma_f64 v[14:15], v[14:15], v[16:17], v[14:15]
	v_div_scale_f64 v[16:17], vcc_lo, v[30:31], v[20:21], v[30:31]
	v_mul_f64 v[24:25], v[16:17], v[14:15]
	v_fma_f64 v[4:5], -v[4:5], v[24:25], v[16:17]
	v_div_fmas_f64 v[4:5], v[4:5], v[14:15], v[24:25]
	v_div_fixup_f64 v[4:5], v[4:5], v[20:21], v[30:31]
	v_cmp_gt_f64_e64 vcc_lo, |v[4:5]|, v[2:3]
	v_and_b32_e32 v14, 0x7fffffff, v5
	v_cndmask_b32_e32 v3, v3, v14, vcc_lo
	v_cndmask_b32_e32 v2, v2, v4, vcc_lo
	v_mul_f64 v[30:31], v[2:3], s[60:61]
	v_cmpx_nge_f64_e32 1.0, v[30:31]
	s_cbranch_execz .LBB1_92
; %bb.134:                              ;   in Loop: Header=BB1_93 Depth=3
	v_cmp_gt_f64_e32 vcc_lo, 0x10000000, v[30:31]
	s_mov_b32 s58, s50
	s_mov_b32 s62, s44
	v_mul_f64 v[2:3], v[50:51], s[58:59]
	v_mul_f64 v[34:35], v[50:51], s[62:63]
	s_mov_b32 s1, exec_lo
	v_cndmask_b32_e64 v4, 0, 0x100, vcc_lo
	v_ldexp_f64 v[4:5], v[30:31], v4
	v_rsq_f64_e32 v[14:15], v[4:5]
	v_mul_f64 v[16:17], v[4:5], v[14:15]
	v_mul_f64 v[14:15], v[14:15], 0.5
	v_fma_f64 v[24:25], -v[14:15], v[16:17], 0.5
	v_fma_f64 v[16:17], v[16:17], v[24:25], v[16:17]
	v_fma_f64 v[14:15], v[14:15], v[24:25], v[14:15]
	v_fma_f64 v[27:28], -v[16:17], v[16:17], v[4:5]
	v_fma_f64 v[16:17], v[27:28], v[14:15], v[16:17]
	v_fma_f64 v[24:25], -v[16:17], v[16:17], v[4:5]
	v_fma_f64 v[14:15], v[24:25], v[14:15], v[16:17]
	v_cndmask_b32_e64 v16, 0, 0xffffff80, vcc_lo
	v_cmp_class_f64_e64 vcc_lo, v[4:5], 0x260
	v_ldexp_f64 v[14:15], v[14:15], v16
	v_cndmask_b32_e32 v5, v15, v5, vcc_lo
	v_cndmask_b32_e32 v4, v14, v4, vcc_lo
	v_cmp_gt_f64_e32 vcc_lo, 0x10000000, v[4:5]
	v_cndmask_b32_e64 v14, 0, 0x100, vcc_lo
	v_ldexp_f64 v[4:5], v[4:5], v14
	v_rsq_f64_e32 v[14:15], v[4:5]
	v_mul_f64 v[16:17], v[4:5], v[14:15]
	v_mul_f64 v[14:15], v[14:15], 0.5
	v_fma_f64 v[24:25], -v[14:15], v[16:17], 0.5
	v_fma_f64 v[16:17], v[16:17], v[24:25], v[16:17]
	v_fma_f64 v[14:15], v[14:15], v[24:25], v[14:15]
	v_fma_f64 v[27:28], -v[16:17], v[16:17], v[4:5]
	v_fma_f64 v[16:17], v[27:28], v[14:15], v[16:17]
	v_fma_f64 v[24:25], -v[16:17], v[16:17], v[4:5]
	v_fma_f64 v[14:15], v[24:25], v[14:15], v[16:17]
	v_cndmask_b32_e64 v16, 0, 0xffffff80, vcc_lo
	v_cmp_class_f64_e64 vcc_lo, v[4:5], 0x260
	v_ldexp_f64 v[14:15], v[14:15], v16
	v_cndmask_b32_e32 v5, v15, v5, vcc_lo
	v_cndmask_b32_e32 v4, v14, v4, vcc_lo
	v_div_scale_f64 v[14:15], null, v[4:5], v[4:5], v[2:3]
	v_rcp_f64_e32 v[16:17], v[14:15]
	v_fma_f64 v[24:25], -v[14:15], v[16:17], 1.0
	v_fma_f64 v[16:17], v[16:17], v[24:25], v[16:17]
	v_fma_f64 v[24:25], -v[14:15], v[16:17], 1.0
	v_fma_f64 v[16:17], v[16:17], v[24:25], v[16:17]
	v_div_scale_f64 v[24:25], vcc_lo, v[2:3], v[4:5], v[2:3]
	v_mul_f64 v[27:28], v[24:25], v[16:17]
	v_fma_f64 v[14:15], -v[14:15], v[27:28], v[24:25]
	v_div_fmas_f64 v[14:15], v[14:15], v[16:17], v[27:28]
	v_div_fixup_f64 v[36:37], v[14:15], v[4:5], v[2:3]
	v_cmpx_le_f64_e32 0, v[34:35]
	s_xor_b32 s1, exec_lo, s1
	s_cbranch_execz .LBB1_138
; %bb.135:                              ;   in Loop: Header=BB1_93 Depth=3
	s_mov_b32 s4, exec_lo
	v_cmpx_gt_f64_e32 v[36:37], v[34:35]
	s_xor_b32 s4, exec_lo, s4
; %bb.136:                              ;   in Loop: Header=BB1_93 Depth=3
	v_mov_b32_e32 v34, v36
	v_mov_b32_e32 v35, v37
; %bb.137:                              ;   in Loop: Header=BB1_93 Depth=3
	s_or_b32 exec_lo, exec_lo, s4
                                        ; implicit-def: $vgpr36_vgpr37
.LBB1_138:                              ;   in Loop: Header=BB1_93 Depth=3
	s_andn2_saveexec_b32 s1, s1
	s_cbranch_execz .LBB1_91
; %bb.139:                              ;   in Loop: Header=BB1_93 Depth=3
	s_mov_b32 s4, exec_lo
	v_cmpx_lt_f64_e32 v[36:37], v[34:35]
	s_xor_b32 s4, exec_lo, s4
	s_cbranch_execz .LBB1_90
; %bb.140:                              ;   in Loop: Header=BB1_93 Depth=3
	v_mov_b32_e32 v34, v36
	v_mov_b32_e32 v35, v37
	s_branch .LBB1_90
.LBB1_141:                              ;   in Loop: Header=BB1_81 Depth=2
	s_or_b32 exec_lo, exec_lo, s38
	s_mov_b32 s0, 0xa34ca0c3
	s_mov_b32 s1, 0x3f28c5c9
                                        ; implicit-def: $vgpr52_vgpr53
	v_cmp_nlt_f64_e32 vcc_lo, s[0:1], v[30:31]
	s_and_saveexec_b32 s0, vcc_lo
	s_xor_b32 s0, exec_lo, s0
; %bb.142:                              ;   in Loop: Header=BB1_81 Depth=2
	v_mul_f64 v[52:53], 0x40140000, v[50:51]
; %bb.143:                              ;   in Loop: Header=BB1_81 Depth=2
	s_andn2_saveexec_b32 s4, s0
	s_cbranch_execz .LBB1_145
; %bb.144:                              ;   in Loop: Header=BB1_81 Depth=2
	v_frexp_mant_f64_e32 v[2:3], v[30:31]
	v_readlane_b32 s0, v127, 12
	v_readlane_b32 s1, v127, 13
	s_mov_b32 s0, s24
	s_mov_b32 s38, 0x968915a9
	;; [unrolled: 1-line block ×5, first 2 shown]
	v_readlane_b32 s42, v127, 4
	v_readlane_b32 s43, v127, 5
	s_mov_b32 s42, s24
	s_mov_b32 s70, 0x652b82fe
	;; [unrolled: 1-line block ×5, first 2 shown]
	v_cmp_gt_f64_e32 vcc_lo, s[0:1], v[2:3]
	v_cndmask_b32_e64 v4, 0, 1, vcc_lo
	v_ldexp_f64 v[2:3], v[2:3], v4
	v_add_f64 v[4:5], v[2:3], 1.0
	v_add_f64 v[24:25], v[2:3], -1.0
	v_rcp_f64_e32 v[14:15], v[4:5]
	v_add_f64 v[27:28], v[4:5], -1.0
	v_add_f64 v[2:3], v[2:3], -v[27:28]
	v_fma_f64 v[16:17], -v[4:5], v[14:15], 1.0
	v_fma_f64 v[14:15], v[16:17], v[14:15], v[14:15]
	v_fma_f64 v[16:17], -v[4:5], v[14:15], 1.0
	v_fma_f64 v[14:15], v[16:17], v[14:15], v[14:15]
	v_mul_f64 v[16:17], v[24:25], v[14:15]
	v_mul_f64 v[34:35], v[4:5], v[16:17]
	v_fma_f64 v[4:5], v[16:17], v[4:5], -v[34:35]
	v_fma_f64 v[2:3], v[16:17], v[2:3], v[4:5]
	v_add_f64 v[4:5], v[34:35], v[2:3]
	v_add_f64 v[27:28], v[24:25], -v[4:5]
	v_add_f64 v[34:35], v[4:5], -v[34:35]
	;; [unrolled: 1-line block ×5, first 2 shown]
	v_add_f64 v[2:3], v[2:3], v[4:5]
	v_add_f64 v[2:3], v[27:28], v[2:3]
	v_mul_f64 v[2:3], v[14:15], v[2:3]
	v_add_f64 v[4:5], v[16:17], v[2:3]
	v_add_f64 v[14:15], v[4:5], -v[16:17]
	v_mul_f64 v[16:17], v[4:5], v[4:5]
	v_add_f64 v[2:3], v[2:3], -v[14:15]
	v_fma_f64 v[14:15], v[4:5], v[4:5], -v[16:17]
	v_add_f64 v[24:25], v[2:3], v[2:3]
	v_fma_f64 v[14:15], v[4:5], v[24:25], v[14:15]
	v_add_f64 v[24:25], v[16:17], v[14:15]
	v_fma_f64 v[27:28], v[24:25], s[68:69], s[38:39]
	s_mov_b32 s38, 0x3abe935a
	s_mov_b32 s39, 0x3fbe25e4
	v_add_f64 v[16:17], v[24:25], -v[16:17]
	v_mul_f64 v[38:39], v[4:5], v[24:25]
	v_fma_f64 v[27:28], v[24:25], v[27:28], s[38:39]
	s_mov_b32 s38, 0x47e6c9c2
	s_mov_b32 s39, 0x3fc110ef
	v_add_f64 v[14:15], v[14:15], -v[16:17]
	v_fma_f64 v[27:28], v[24:25], v[27:28], s[38:39]
	s_mov_b32 s38, 0xcfa74449
	s_mov_b32 s39, 0x3fc3b13b
	v_fma_f64 v[27:28], v[24:25], v[27:28], s[38:39]
	s_mov_b32 s38, 0x71bf3c30
	s_mov_b32 s39, 0x3fc745d1
	;; [unrolled: 3-line block ×5, first 2 shown]
	v_fma_f64 v[27:28], v[24:25], v[27:28], s[38:39]
	s_mov_b32 s39, s1
	v_writelane_b32 v127, s38, 12
	v_writelane_b32 v127, s39, 13
	s_mov_b32 s38, 0x3b39803f
	s_mov_b32 s39, 0x3c7abc9e
	v_mul_f64 v[34:35], v[24:25], v[27:28]
	v_fma_f64 v[16:17], v[24:25], v[27:28], -v[34:35]
	v_fma_f64 v[16:17], v[14:15], v[27:28], v[16:17]
	v_add_f64 v[27:28], v[34:35], v[16:17]
	v_add_f64 v[36:37], v[27:28], s[0:1]
	v_add_f64 v[34:35], v[27:28], -v[34:35]
	s_mov_b32 s1, s43
	v_writelane_b32 v127, s0, 4
	v_writelane_b32 v127, s1, 5
	s_mov_b32 s0, 0xd5df274d
	s_mov_b32 s1, 0x3c8543b0
	v_add_f64 v[40:41], v[36:37], s[42:43]
	v_add_f64 v[16:17], v[16:17], -v[34:35]
	v_fma_f64 v[34:35], v[24:25], v[4:5], -v[38:39]
	v_add_f64 v[27:28], v[27:28], -v[40:41]
	v_add_f64 v[16:17], v[16:17], s[0:1]
	v_fma_f64 v[24:25], v[24:25], v[2:3], v[34:35]
	s_mov_b32 s0, 0xfefa39ef
	s_mov_b32 s1, 0x3fe62e42
	v_ldexp_f64 v[2:3], v[2:3], 1
	s_mov_b32 s86, s0
	v_add_f64 v[16:17], v[16:17], v[27:28]
	v_fma_f64 v[14:15], v[14:15], v[4:5], v[24:25]
	v_ldexp_f64 v[4:5], v[4:5], 1
	v_add_f64 v[24:25], v[36:37], v[16:17]
	v_add_f64 v[27:28], v[38:39], v[14:15]
	v_add_f64 v[34:35], v[36:37], -v[24:25]
	v_mul_f64 v[36:37], v[27:28], v[24:25]
	v_add_f64 v[38:39], v[27:28], -v[38:39]
	v_add_f64 v[16:17], v[16:17], v[34:35]
	v_fma_f64 v[34:35], v[27:28], v[24:25], -v[36:37]
	v_add_f64 v[14:15], v[14:15], -v[38:39]
	v_fma_f64 v[16:17], v[27:28], v[16:17], v[34:35]
	v_fma_f64 v[14:15], v[14:15], v[24:25], v[16:17]
	v_frexp_exp_i32_f64_e32 v24, v[30:31]
	v_add_f64 v[16:17], v[36:37], v[14:15]
	v_subrev_co_ci_u32_e64 v24, null, 0, v24, vcc_lo
	v_cmp_eq_f64_e32 vcc_lo, 1.0, v[30:31]
	v_cvt_f64_i32_e32 v[24:25], v24
	v_add_f64 v[27:28], v[4:5], v[16:17]
	v_add_f64 v[34:35], v[16:17], -v[36:37]
	v_mul_f64 v[36:37], v[24:25], s[0:1]
	v_add_f64 v[4:5], v[27:28], -v[4:5]
	v_add_f64 v[14:15], v[14:15], -v[34:35]
	v_fma_f64 v[34:35], v[24:25], s[0:1], -v[36:37]
	v_readlane_b32 s0, v127, 6
	v_readlane_b32 s1, v127, 7
	v_add_f64 v[4:5], v[16:17], -v[4:5]
	v_add_f64 v[2:3], v[2:3], v[14:15]
	v_fma_f64 v[14:15], v[24:25], s[38:39], v[34:35]
	s_mov_b32 s39, s1
	v_writelane_b32 v127, s0, 6
	v_writelane_b32 v127, s1, 7
	s_mov_b32 s0, 0xfca7ab0c
	s_mov_b32 s1, 0x3e928af3
	v_add_f64 v[2:3], v[2:3], v[4:5]
	v_add_f64 v[4:5], v[36:37], v[14:15]
	;; [unrolled: 1-line block ×3, first 2 shown]
	v_add_f64 v[36:37], v[4:5], -v[36:37]
	v_add_f64 v[24:25], v[4:5], v[16:17]
	v_add_f64 v[27:28], v[16:17], -v[27:28]
	v_add_f64 v[14:15], v[14:15], -v[36:37]
	;; [unrolled: 1-line block ×6, first 2 shown]
	v_add_f64 v[27:28], v[14:15], v[2:3]
	v_add_f64 v[4:5], v[4:5], -v[38:39]
	v_add_f64 v[4:5], v[16:17], v[4:5]
	v_add_f64 v[16:17], v[27:28], -v[14:15]
	;; [unrolled: 2-line block ×3, first 2 shown]
	v_add_f64 v[2:3], v[2:3], -v[16:17]
	v_add_f64 v[34:35], v[24:25], v[4:5]
	v_add_f64 v[14:15], v[14:15], -v[27:28]
	v_add_f64 v[16:17], v[34:35], -v[24:25]
	v_add_f64 v[2:3], v[2:3], v[14:15]
	v_cndmask_b32_e32 v15, 0xbfc99999, v73, vcc_lo
	v_cndmask_b32_e64 v14, 0x9999999a, 0, vcc_lo
	v_add_f64 v[4:5], v[4:5], -v[16:17]
	v_add_f64 v[2:3], v[2:3], v[4:5]
	v_add_f64 v[4:5], v[34:35], v[2:3]
	v_add_f64 v[16:17], v[4:5], -v[34:35]
	v_mul_f64 v[24:25], v[14:15], v[4:5]
	v_add_f64 v[2:3], v[2:3], -v[16:17]
	v_fma_f64 v[4:5], v[14:15], v[4:5], -v[24:25]
	v_cmp_class_f64_e64 vcc_lo, v[24:25], 0x204
	v_fma_f64 v[2:3], v[14:15], v[2:3], v[4:5]
	v_add_f64 v[4:5], v[24:25], v[2:3]
	v_cndmask_b32_e32 v15, v5, v25, vcc_lo
	v_cndmask_b32_e32 v14, v4, v24, vcc_lo
	v_add_f64 v[4:5], v[4:5], -v[24:25]
	v_mul_f64 v[16:17], v[14:15], s[70:71]
	v_cmp_neq_f64_e64 vcc_lo, 0x7ff00000, |v[14:15]|
	v_add_f64 v[2:3], v[2:3], -v[4:5]
	v_rndne_f64_e32 v[16:17], v[16:17]
	v_cndmask_b32_e32 v3, 0, v3, vcc_lo
	v_cndmask_b32_e32 v2, 0, v2, vcc_lo
	v_fma_f64 v[27:28], v[16:17], s[86:87], v[14:15]
	v_cvt_i32_f64_e32 v31, v[16:17]
	v_fma_f64 v[27:28], v[16:17], s[38:39], v[27:28]
	s_mov_b32 s38, 0x6a5dcb37
	s_mov_b32 s39, 0x3e5ade15
	v_fma_f64 v[29:30], v[27:28], s[38:39], s[0:1]
	s_mov_b32 s0, 0x623fde64
	s_mov_b32 s1, 0x3ec71dee
	;; [unrolled: 3-line block ×5, first 2 shown]
	v_fma_f64 v[29:30], v[27:28], v[29:30], s[0:1]
	v_readlane_b32 s0, v127, 8
	v_readlane_b32 s1, v127, 9
	s_mov_b32 s1, s37
	s_mov_b32 s38, s0
	v_writelane_b32 v127, s38, 8
	v_writelane_b32 v127, s39, 9
	v_fma_f64 v[29:30], v[27:28], v[29:30], s[0:1]
	s_mov_b32 s0, 0x55555511
	s_mov_b32 s1, 0x3fc55555
	v_fma_f64 v[29:30], v[27:28], v[29:30], s[84:85]
	v_fma_f64 v[29:30], v[27:28], v[29:30], s[0:1]
	s_mov_b32 s0, 11
	s_mov_b32 s1, 0x3fe00000
	v_fma_f64 v[29:30], v[27:28], v[29:30], s[0:1]
	v_cmp_nlt_f64_e64 s0, 0x40900000, v[14:15]
	v_cmp_ngt_f64_e64 s1, 0xc090cc00, v[14:15]
	v_mul_f64 v[14:15], v[50:51], s[58:59]
	v_fma_f64 v[29:30], v[27:28], v[29:30], 1.0
	s_and_b32 vcc_lo, s1, s0
	v_fma_f64 v[16:17], v[27:28], v[29:30], 1.0
	v_ldexp_f64 v[16:17], v[16:17], v31
	v_cndmask_b32_e64 v4, 0x7ff00000, v17, s0
	v_cndmask_b32_e64 v5, 0, v4, s1
	v_cndmask_b32_e32 v4, 0, v16, vcc_lo
	v_fma_f64 v[2:3], v[4:5], v[2:3], v[4:5]
	v_cmp_class_f64_e64 vcc_lo, v[4:5], 0x204
	v_cndmask_b32_e32 v3, v3, v5, vcc_lo
	v_cndmask_b32_e32 v2, v2, v4, vcc_lo
	v_mul_f64 v[52:53], v[14:15], |v[2:3]|
.LBB1_145:                              ;   in Loop: Header=BB1_81 Depth=2
	s_or_b32 exec_lo, exec_lo, s4
	s_mov_b32 s0, 0x43b990ee
	s_mov_b32 s1, 0x3fb90ee6
	s_mov_b32 s4, -1
	v_fma_f64 v[2:3], v[76:77], s[0:1], v[69:70]
	s_mov_b32 s0, 0x2e2bb280
	s_mov_b32 s1, 0x3fd9c3d0
	v_fma_f64 v[2:3], v[84:85], s[0:1], v[2:3]
	s_mov_b32 s0, 0x76166929
	s_mov_b32 s1, 0x3fcaef9f
	;; [unrolled: 3-line block ×3, first 2 shown]
	v_fma_f64 v[69:70], v[32:33], s[0:1], v[2:3]
	s_clause 0x1
	buffer_load_dword v2, off, s[100:103], 0 offset:24
	buffer_load_dword v3, off, s[100:103], 0 offset:28
	s_mov_b32 s1, -1
	v_cmp_nlt_f64_e32 vcc_lo, 0x408f4000, v[69:70]
	s_waitcnt vmcnt(0)
	v_cmp_nlt_f64_e64 s0, 0, v[2:3]
	s_clause 0x1
	buffer_load_dword v2, off, s[100:103], 0 offset:160
	buffer_load_dword v3, off, s[100:103], 0 offset:164
	s_or_b32 s0, vcc_lo, s0
	s_waitcnt vmcnt(0)
	v_cmp_nlt_f64_e32 vcc_lo, v[69:70], v[2:3]
	s_and_b32 s38, vcc_lo, s0
	s_and_saveexec_b32 s0, s38
	s_cbranch_execz .LBB1_80
; %bb.146:                              ;   in Loop: Header=BB1_81 Depth=2
	s_clause 0x7
	buffer_load_dword v2, off, s[100:103], 0
	buffer_load_dword v3, off, s[100:103], 0 offset:4
	buffer_load_dword v4, off, s[100:103], 0 offset:144
	;; [unrolled: 1-line block ×7, first 2 shown]
	s_mov_b32 s38, 0x43b990ee
	s_mov_b32 s39, 0x3fb90ee6
	v_cmp_gt_f64_e32 vcc_lo, 0x407f4000, v[69:70]
	v_fma_f64 v[24:25], v[74:75], s[38:39], v[116:117]
	s_xor_b32 s4, exec_lo, -1
	s_orn2_b32 s1, vcc_lo, exec_lo
	s_waitcnt vmcnt(6)
	v_fma_f64 v[2:3], v[48:49], s[38:39], v[2:3]
	s_waitcnt vmcnt(4)
	v_fma_f64 v[4:5], v[104:105], s[38:39], v[4:5]
	;; [unrolled: 2-line block ×3, first 2 shown]
	v_fma_f64 v[16:17], v[78:79], s[38:39], v[65:66]
	s_mov_b32 s38, 0x2e2bb280
	s_mov_b32 s39, 0x3fd9c3d0
	v_fma_f64 v[24:25], v[82:83], s[38:39], v[24:25]
	v_fma_f64 v[2:3], v[80:81], s[38:39], v[2:3]
	;; [unrolled: 1-line block ×5, first 2 shown]
	s_mov_b32 s38, 0x76166929
	s_mov_b32 s39, 0x3fcaef9f
	v_fma_f64 v[24:25], v[90:91], s[38:39], v[24:25]
	v_fma_f64 v[2:3], v[86:87], s[38:39], v[2:3]
	;; [unrolled: 1-line block ×5, first 2 shown]
	s_mov_b32 s38, 0x85dab4b0
	s_mov_b32 s39, 0x3fd280a6
	v_fma_f64 v[116:117], v[18:19], s[38:39], v[24:25]
	v_fma_f64 v[0:1], v[0:1], s[38:39], v[2:3]
	buffer_store_dword v0, off, s[100:103], 0 ; 4-byte Folded Spill
	buffer_store_dword v1, off, s[100:103], 0 offset:4 ; 4-byte Folded Spill
	v_fma_f64 v[0:1], v[6:7], s[38:39], v[4:5]
	v_fma_f64 v[65:66], v[12:13], s[38:39], v[16:17]
	buffer_store_dword v0, off, s[100:103], 0 offset:144 ; 4-byte Folded Spill
	buffer_store_dword v1, off, s[100:103], 0 offset:148 ; 4-byte Folded Spill
	v_fma_f64 v[0:1], v[10:11], s[38:39], v[14:15]
	buffer_store_dword v0, off, s[100:103], 0 offset:152 ; 4-byte Folded Spill
	buffer_store_dword v1, off, s[100:103], 0 offset:156 ; 4-byte Folded Spill
	s_branch .LBB1_80
.LBB1_147:                              ;   in Loop: Header=BB1_79 Depth=1
	s_or_b32 exec_lo, exec_lo, s3
	s_mov_b32 s0, -1
                                        ; implicit-def: $vgpr46_vgpr47
	s_and_saveexec_b32 s1, s2
	s_xor_b32 s46, exec_lo, s1
	s_cbranch_execz .LBB1_78
; %bb.148:                              ;   in Loop: Header=BB1_79 Depth=1
	s_clause 0x1
	buffer_load_dword v0, off, s[100:103], 0
	buffer_load_dword v1, off, s[100:103], 0 offset:4
	v_mov_b32_e32 v44, v65
	v_mov_b32_e32 v45, v66
                                        ; implicit-def: $vgpr30
                                        ; implicit-def: $vgpr56_vgpr57
                                        ; implicit-def: $vgpr58_vgpr59
	s_waitcnt vmcnt(0)
	v_cmp_ngt_f64_e64 s4, 0x41d00000, |v[0:1]|
	v_trig_preop_f64 v[71:72], |v[0:1]|, 0
	v_trig_preop_f64 v[20:21], |v[0:1]|, 1
	v_ldexp_f64 v[74:75], |v[0:1]|, 0xffffff80
	v_trig_preop_f64 v[66:67], |v[0:1]|, 2
	v_and_b32_e32 v18, 0x7fffffff, v1
	s_and_saveexec_b32 s0, s4
	s_xor_b32 s0, exec_lo, s0
	s_cbranch_execz .LBB1_150
; %bb.149:                              ;   in Loop: Header=BB1_79 Depth=1
	s_clause 0x1
	buffer_load_dword v0, off, s[100:103], 0
	buffer_load_dword v1, off, s[100:103], 0 offset:4
	s_mov_b32 s92, s94
	s_mov_b32 s99, s97
	s_waitcnt vmcnt(0)
	v_cmp_le_f64_e64 vcc_lo, 0x7b000000, |v[0:1]|
	v_cndmask_b32_e32 v1, v18, v75, vcc_lo
	v_cndmask_b32_e32 v0, v0, v74, vcc_lo
	v_mul_f64 v[4:5], v[71:72], v[0:1]
	v_mul_f64 v[2:3], v[20:21], v[0:1]
	v_fma_f64 v[6:7], v[71:72], v[0:1], -v[4:5]
	v_add_f64 v[10:11], v[2:3], v[6:7]
	v_add_f64 v[24:25], v[10:11], -v[2:3]
	v_add_f64 v[12:13], v[4:5], v[10:11]
	v_add_f64 v[6:7], v[6:7], -v[24:25]
	v_add_f64 v[24:25], v[10:11], -v[24:25]
	v_ldexp_f64 v[14:15], v[12:13], -2
	v_add_f64 v[4:5], v[12:13], -v[4:5]
	v_add_f64 v[24:25], v[2:3], -v[24:25]
	v_fma_f64 v[2:3], v[20:21], v[0:1], -v[2:3]
	v_add_f64 v[4:5], v[10:11], -v[4:5]
	v_fract_f64_e32 v[16:17], v[14:15]
	v_cmp_neq_f64_e64 vcc_lo, 0x7ff00000, |v[14:15]|
	v_add_f64 v[6:7], v[6:7], v[24:25]
	v_mul_f64 v[24:25], v[66:67], v[0:1]
	v_add_f64 v[27:28], v[24:25], v[2:3]
	v_fma_f64 v[0:1], v[66:67], v[0:1], -v[24:25]
	v_add_f64 v[29:30], v[27:28], v[6:7]
	v_add_f64 v[12:13], v[29:30], -v[27:28]
	v_add_f64 v[10:11], v[4:5], v[29:30]
	v_add_f64 v[6:7], v[6:7], -v[12:13]
	v_add_f64 v[12:13], v[29:30], -v[12:13]
	;; [unrolled: 1-line block ×5, first 2 shown]
	v_add_f64 v[6:7], v[6:7], v[12:13]
	v_add_f64 v[12:13], v[27:28], -v[24:25]
	v_add_f64 v[2:3], v[2:3], -v[12:13]
	;; [unrolled: 1-line block ×4, first 2 shown]
	v_add_f64 v[2:3], v[2:3], v[12:13]
	v_add_f64 v[2:3], v[2:3], v[6:7]
	;; [unrolled: 1-line block ×3, first 2 shown]
	v_ldexp_f64 v[2:3], v[16:17], 2
	v_add_f64 v[0:1], v[4:5], v[0:1]
	v_cndmask_b32_e32 v3, 0, v3, vcc_lo
	v_cndmask_b32_e32 v2, 0, v2, vcc_lo
	v_add_f64 v[4:5], v[10:11], v[2:3]
	v_cmp_gt_f64_e32 vcc_lo, 0, v[4:5]
	v_cndmask_b32_e64 v27, 0, 0x40100000, vcc_lo
	v_add_f64 v[2:3], v[2:3], v[26:27]
	v_add_f64 v[4:5], v[10:11], v[2:3]
	v_cvt_i32_f64_e32 v6, v[4:5]
	v_cvt_f64_i32_e32 v[4:5], v6
	v_add_f64 v[2:3], v[2:3], -v[4:5]
	v_add_f64 v[4:5], v[10:11], v[2:3]
	v_add_f64 v[2:3], v[4:5], -v[2:3]
	v_cmp_le_f64_e32 vcc_lo, 0.5, v[4:5]
	v_add_f64 v[2:3], v[10:11], -v[2:3]
	v_cndmask_b32_e64 v27, 0, 0x3ff00000, vcc_lo
	v_add_co_ci_u32_e64 v30, null, 0, v6, vcc_lo
	v_add_f64 v[0:1], v[0:1], v[2:3]
	v_add_f64 v[2:3], v[4:5], -v[26:27]
	v_add_f64 v[4:5], v[2:3], v[0:1]
	v_add_f64 v[2:3], v[4:5], -v[2:3]
	v_add_f64 v[0:1], v[0:1], -v[2:3]
	v_mul_f64 v[2:3], v[4:5], s[92:93]
	v_fma_f64 v[6:7], v[4:5], s[92:93], -v[2:3]
	v_fma_f64 v[4:5], v[4:5], s[98:99], v[6:7]
	v_fma_f64 v[0:1], v[0:1], s[92:93], v[4:5]
	v_add_f64 v[56:57], v[2:3], v[0:1]
	v_add_f64 v[2:3], v[56:57], -v[2:3]
	v_add_f64 v[58:59], v[0:1], -v[2:3]
	s_andn2_saveexec_b32 s0, s0
	s_cbranch_execz .LBB1_152
	s_branch .LBB1_151
.LBB1_150:                              ;   in Loop: Header=BB1_79 Depth=1
	s_andn2_saveexec_b32 s0, s0
	s_cbranch_execz .LBB1_152
.LBB1_151:                              ;   in Loop: Header=BB1_79 Depth=1
	s_clause 0x1
	buffer_load_dword v2, off, s[100:103], 0
	buffer_load_dword v3, off, s[100:103], 0 offset:4
	s_mov_b32 s96, s16
	s_waitcnt vmcnt(0)
	v_mul_f64 v[0:1], |v[2:3]|, s[6:7]
	v_rndne_f64_e32 v[0:1], v[0:1]
	v_fma_f64 v[2:3], v[0:1], s[94:95], |v[2:3]|
	v_mul_f64 v[4:5], v[0:1], s[16:17]
	v_cvt_i32_f64_e32 v30, v[0:1]
	v_fma_f64 v[10:11], v[0:1], s[16:17], v[2:3]
	v_add_f64 v[6:7], v[2:3], v[4:5]
	v_add_f64 v[2:3], v[2:3], -v[6:7]
	v_add_f64 v[6:7], v[6:7], -v[10:11]
	v_add_f64 v[2:3], v[2:3], v[4:5]
	v_fma_f64 v[4:5], v[0:1], s[96:97], v[4:5]
	v_add_f64 v[2:3], v[6:7], v[2:3]
	v_add_f64 v[2:3], v[2:3], -v[4:5]
	v_fma_f64 v[2:3], v[0:1], s[10:11], v[2:3]
	v_add_f64 v[56:57], v[10:11], v[2:3]
	v_add_f64 v[4:5], v[56:57], -v[10:11]
	v_add_f64 v[58:59], v[2:3], -v[4:5]
.LBB1_152:                              ;   in Loop: Header=BB1_79 Depth=1
	s_or_b32 exec_lo, exec_lo, s0
                                        ; implicit-def: $vgpr31
                                        ; implicit-def: $vgpr60_vgpr61
                                        ; implicit-def: $vgpr62_vgpr63
	s_and_saveexec_b32 s0, s4
	s_xor_b32 s0, exec_lo, s0
	s_cbranch_execz .LBB1_154
; %bb.153:                              ;   in Loop: Header=BB1_79 Depth=1
	s_clause 0x1
	buffer_load_dword v0, off, s[100:103], 0
	buffer_load_dword v1, off, s[100:103], 0 offset:4
	s_mov_b32 s92, s94
	s_mov_b32 s99, s97
	s_waitcnt vmcnt(0)
	v_cmp_le_f64_e64 vcc_lo, 0x7b000000, |v[0:1]|
	v_cndmask_b32_e32 v1, v18, v75, vcc_lo
	v_cndmask_b32_e32 v0, v0, v74, vcc_lo
	v_mul_f64 v[4:5], v[71:72], v[0:1]
	v_mul_f64 v[2:3], v[20:21], v[0:1]
	v_fma_f64 v[6:7], v[71:72], v[0:1], -v[4:5]
	v_add_f64 v[10:11], v[2:3], v[6:7]
	v_add_f64 v[24:25], v[10:11], -v[2:3]
	v_add_f64 v[12:13], v[4:5], v[10:11]
	v_add_f64 v[6:7], v[6:7], -v[24:25]
	v_add_f64 v[24:25], v[10:11], -v[24:25]
	v_ldexp_f64 v[14:15], v[12:13], -2
	v_add_f64 v[4:5], v[12:13], -v[4:5]
	v_add_f64 v[24:25], v[2:3], -v[24:25]
	v_fma_f64 v[2:3], v[20:21], v[0:1], -v[2:3]
	v_add_f64 v[4:5], v[10:11], -v[4:5]
	v_fract_f64_e32 v[16:17], v[14:15]
	v_cmp_neq_f64_e64 vcc_lo, 0x7ff00000, |v[14:15]|
	v_add_f64 v[6:7], v[6:7], v[24:25]
	v_mul_f64 v[24:25], v[66:67], v[0:1]
	v_add_f64 v[27:28], v[24:25], v[2:3]
	v_fma_f64 v[0:1], v[66:67], v[0:1], -v[24:25]
	v_add_f64 v[31:32], v[27:28], v[6:7]
	v_add_f64 v[12:13], v[31:32], -v[27:28]
	v_add_f64 v[10:11], v[4:5], v[31:32]
	v_add_f64 v[6:7], v[6:7], -v[12:13]
	v_add_f64 v[12:13], v[31:32], -v[12:13]
	;; [unrolled: 1-line block ×5, first 2 shown]
	v_add_f64 v[6:7], v[6:7], v[12:13]
	v_add_f64 v[12:13], v[27:28], -v[24:25]
	v_add_f64 v[2:3], v[2:3], -v[12:13]
	;; [unrolled: 1-line block ×4, first 2 shown]
	v_add_f64 v[2:3], v[2:3], v[12:13]
	v_add_f64 v[2:3], v[2:3], v[6:7]
	;; [unrolled: 1-line block ×3, first 2 shown]
	v_ldexp_f64 v[2:3], v[16:17], 2
	v_add_f64 v[0:1], v[4:5], v[0:1]
	v_cndmask_b32_e32 v3, 0, v3, vcc_lo
	v_cndmask_b32_e32 v2, 0, v2, vcc_lo
	v_add_f64 v[4:5], v[10:11], v[2:3]
	v_cmp_gt_f64_e32 vcc_lo, 0, v[4:5]
	v_cndmask_b32_e64 v27, 0, 0x40100000, vcc_lo
	v_add_f64 v[2:3], v[2:3], v[26:27]
	v_add_f64 v[4:5], v[10:11], v[2:3]
	v_cvt_i32_f64_e32 v6, v[4:5]
	v_cvt_f64_i32_e32 v[4:5], v6
	v_add_f64 v[2:3], v[2:3], -v[4:5]
	v_add_f64 v[4:5], v[10:11], v[2:3]
	v_add_f64 v[2:3], v[4:5], -v[2:3]
	v_cmp_le_f64_e32 vcc_lo, 0.5, v[4:5]
	v_add_f64 v[2:3], v[10:11], -v[2:3]
	v_cndmask_b32_e64 v27, 0, 0x3ff00000, vcc_lo
	v_add_co_ci_u32_e64 v31, null, 0, v6, vcc_lo
	v_add_f64 v[0:1], v[0:1], v[2:3]
	v_add_f64 v[2:3], v[4:5], -v[26:27]
	v_add_f64 v[4:5], v[2:3], v[0:1]
	v_add_f64 v[2:3], v[4:5], -v[2:3]
	v_add_f64 v[0:1], v[0:1], -v[2:3]
	v_mul_f64 v[2:3], v[4:5], s[92:93]
	v_fma_f64 v[6:7], v[4:5], s[92:93], -v[2:3]
	v_fma_f64 v[4:5], v[4:5], s[98:99], v[6:7]
	v_fma_f64 v[0:1], v[0:1], s[92:93], v[4:5]
	v_add_f64 v[60:61], v[2:3], v[0:1]
	v_add_f64 v[2:3], v[60:61], -v[2:3]
	v_add_f64 v[62:63], v[0:1], -v[2:3]
	s_andn2_saveexec_b32 s0, s0
	s_cbranch_execnz .LBB1_155
	s_branch .LBB1_156
.LBB1_154:                              ;   in Loop: Header=BB1_79 Depth=1
	s_andn2_saveexec_b32 s0, s0
	s_cbranch_execz .LBB1_156
.LBB1_155:                              ;   in Loop: Header=BB1_79 Depth=1
	s_clause 0x1
	buffer_load_dword v2, off, s[100:103], 0
	buffer_load_dword v3, off, s[100:103], 0 offset:4
	s_mov_b32 s96, s16
	s_waitcnt vmcnt(0)
	v_mul_f64 v[0:1], |v[2:3]|, s[6:7]
	v_rndne_f64_e32 v[0:1], v[0:1]
	v_fma_f64 v[2:3], v[0:1], s[94:95], |v[2:3]|
	v_mul_f64 v[4:5], v[0:1], s[16:17]
	v_cvt_i32_f64_e32 v31, v[0:1]
	v_fma_f64 v[10:11], v[0:1], s[16:17], v[2:3]
	v_add_f64 v[6:7], v[2:3], v[4:5]
	v_add_f64 v[2:3], v[2:3], -v[6:7]
	v_add_f64 v[6:7], v[6:7], -v[10:11]
	v_add_f64 v[2:3], v[2:3], v[4:5]
	v_fma_f64 v[4:5], v[0:1], s[96:97], v[4:5]
	v_add_f64 v[2:3], v[6:7], v[2:3]
	v_add_f64 v[2:3], v[2:3], -v[4:5]
	v_fma_f64 v[2:3], v[0:1], s[10:11], v[2:3]
	v_add_f64 v[60:61], v[10:11], v[2:3]
	v_add_f64 v[4:5], v[60:61], -v[10:11]
	v_add_f64 v[62:63], v[2:3], -v[4:5]
.LBB1_156:                              ;   in Loop: Header=BB1_79 Depth=1
	s_or_b32 exec_lo, exec_lo, s0
	s_clause 0x1
	buffer_load_dword v2, off, s[100:103], 0 offset:192
	buffer_load_dword v3, off, s[100:103], 0 offset:196
	v_add_f64 v[46:47], v[69:70], v[69:70]
	v_mul_f64 v[54:55], v[69:70], v[69:70]
	v_mov_b32_e32 v40, v69
	v_mov_b32_e32 v41, v70
                                        ; implicit-def: $vgpr50_vgpr51
	v_fma_f64 v[0:1], v[69:70], v[69:70], -v[46:47]
	v_add_f64 v[48:49], v[8:9], v[0:1]
	s_waitcnt vmcnt(0)
	v_cmp_nlt_f64_e32 vcc_lo, v[69:70], v[2:3]
                                        ; implicit-def: $vgpr68_vgpr69
	s_and_saveexec_b32 s0, vcc_lo
	s_xor_b32 s0, exec_lo, s0
	s_cbranch_execz .LBB1_158
; %bb.157:                              ;   in Loop: Header=BB1_79 Depth=1
	v_mov_b32_e32 v24, v40
	v_mov_b32_e32 v25, v41
	v_add_f64 v[48:49], v[8:9], v[0:1]
	v_cmp_gt_f64_e32 vcc_lo, 0x10000000, v[24:25]
	v_cndmask_b32_e64 v2, 0, 0x100, vcc_lo
	v_ldexp_f64 v[2:3], v[24:25], v2
	v_rsq_f64_e32 v[4:5], v[2:3]
	v_mul_f64 v[6:7], v[2:3], v[4:5]
	v_mul_f64 v[4:5], v[4:5], 0.5
	v_fma_f64 v[10:11], -v[4:5], v[6:7], 0.5
	v_fma_f64 v[6:7], v[6:7], v[10:11], v[6:7]
	v_fma_f64 v[4:5], v[4:5], v[10:11], v[4:5]
	v_fma_f64 v[12:13], -v[6:7], v[6:7], v[2:3]
	v_fma_f64 v[6:7], v[12:13], v[4:5], v[6:7]
	v_fma_f64 v[10:11], -v[6:7], v[6:7], v[2:3]
	v_fma_f64 v[4:5], v[10:11], v[4:5], v[6:7]
	v_cndmask_b32_e64 v6, 0, 0xffffff80, vcc_lo
	v_cmp_class_f64_e64 vcc_lo, v[2:3], 0x260
	v_ldexp_f64 v[4:5], v[4:5], v6
	s_clause 0x1
	buffer_load_dword v6, off, s[100:103], 0 offset:184
	buffer_load_dword v7, off, s[100:103], 0 offset:188
	v_cndmask_b32_e32 v3, v5, v3, vcc_lo
	v_cndmask_b32_e32 v2, v4, v2, vcc_lo
	v_fma_f64 v[4:5], 0xc0080000, v[24:25], v[54:55]
	s_waitcnt vmcnt(0)
	v_fma_f64 v[4:5], v[6:7], v[2:3], v[4:5]
	v_cmp_gt_f64_e32 vcc_lo, 0x10000000, v[4:5]
	v_cndmask_b32_e64 v6, 0, 0x100, vcc_lo
	v_ldexp_f64 v[4:5], v[4:5], v6
	v_rsq_f64_e32 v[6:7], v[4:5]
	v_mul_f64 v[10:11], v[4:5], v[6:7]
	v_mul_f64 v[6:7], v[6:7], 0.5
	v_fma_f64 v[12:13], -v[6:7], v[10:11], 0.5
	v_fma_f64 v[10:11], v[10:11], v[12:13], v[10:11]
	v_fma_f64 v[6:7], v[6:7], v[12:13], v[6:7]
	v_fma_f64 v[14:15], -v[10:11], v[10:11], v[4:5]
	v_fma_f64 v[10:11], v[14:15], v[6:7], v[10:11]
	v_fma_f64 v[12:13], -v[10:11], v[10:11], v[4:5]
	v_fma_f64 v[6:7], v[12:13], v[6:7], v[10:11]
	v_cndmask_b32_e64 v10, 0, 0xffffff80, vcc_lo
	v_cmp_class_f64_e64 vcc_lo, v[4:5], 0x260
	v_ldexp_f64 v[6:7], v[6:7], v10
	v_cndmask_b32_e32 v5, v7, v5, vcc_lo
	v_cndmask_b32_e32 v4, v6, v4, vcc_lo
	v_mul_f64 v[6:7], v[2:3], v[4:5]
	v_fma_f64 v[2:3], s[8:9], v[2:3], v[54:55]
	v_mul_f64 v[4:5], v[24:25], v[4:5]
	v_div_scale_f64 v[10:11], null, v[6:7], v[6:7], 1.0
	v_rcp_f64_e32 v[12:13], v[10:11]
	v_fma_f64 v[14:15], -v[10:11], v[12:13], 1.0
	v_fma_f64 v[12:13], v[12:13], v[14:15], v[12:13]
	v_fma_f64 v[14:15], -v[10:11], v[12:13], 1.0
	v_fma_f64 v[12:13], v[12:13], v[14:15], v[12:13]
	v_div_scale_f64 v[14:15], vcc_lo, 1.0, v[6:7], 1.0
	v_mul_f64 v[16:17], v[14:15], v[12:13]
	v_fma_f64 v[10:11], -v[10:11], v[16:17], v[14:15]
	v_div_fmas_f64 v[10:11], v[10:11], v[12:13], v[16:17]
	v_div_fixup_f64 v[68:69], v[10:11], v[6:7], 1.0
	v_div_scale_f64 v[6:7], null, v[4:5], v[4:5], v[2:3]
	v_rcp_f64_e32 v[10:11], v[6:7]
	v_fma_f64 v[12:13], -v[6:7], v[10:11], 1.0
	v_fma_f64 v[10:11], v[10:11], v[12:13], v[10:11]
	v_fma_f64 v[12:13], -v[6:7], v[10:11], 1.0
	v_fma_f64 v[10:11], v[10:11], v[12:13], v[10:11]
	v_div_scale_f64 v[12:13], vcc_lo, v[2:3], v[4:5], v[2:3]
	v_mul_f64 v[14:15], v[12:13], v[10:11]
	v_fma_f64 v[6:7], -v[6:7], v[14:15], v[12:13]
	v_div_fmas_f64 v[6:7], v[6:7], v[10:11], v[14:15]
	v_div_fixup_f64 v[50:51], v[6:7], v[4:5], v[2:3]
.LBB1_158:                              ;   in Loop: Header=BB1_79 Depth=1
	s_or_saveexec_b32 s48, s0
	v_mov_b32_e32 v64, 0
	v_mov_b32_e32 v65, 0
	s_xor_b32 exec_lo, exec_lo, s48
	s_cbranch_execz .LBB1_160
; %bb.159:                              ;   in Loop: Header=BB1_79 Depth=1
	s_clause 0x5
	buffer_load_dword v22, off, s[100:103], 0 offset:200
	buffer_load_dword v23, off, s[100:103], 0 offset:204
	buffer_load_dword v42, off, s[100:103], 0 offset:208
	buffer_load_dword v43, off, s[100:103], 0 offset:212
	buffer_load_dword v12, off, s[100:103], 0 offset:192
	buffer_load_dword v13, off, s[100:103], 0 offset:196
	v_mov_b32_e32 v38, v40
	v_mov_b32_e32 v39, v41
	v_readlane_b32 s0, v127, 12
	v_readlane_b32 s1, v127, 13
	s_mov_b32 s0, s24
	s_mov_b32 s38, 0x968915a9
	;; [unrolled: 1-line block ×6, first 2 shown]
	s_waitcnt vmcnt(4)
	v_mul_f64 v[0:1], s[8:9], v[22:23]
	v_add_f64 v[0:1], v[46:47], -v[0:1]
	v_div_scale_f64 v[2:3], null, v[48:49], v[48:49], v[0:1]
	v_rcp_f64_e32 v[4:5], v[2:3]
	v_fma_f64 v[6:7], -v[2:3], v[4:5], 1.0
	v_fma_f64 v[4:5], v[4:5], v[6:7], v[4:5]
	v_fma_f64 v[6:7], -v[2:3], v[4:5], 1.0
	v_fma_f64 v[4:5], v[4:5], v[6:7], v[4:5]
	v_div_scale_f64 v[6:7], vcc_lo, v[0:1], v[48:49], v[0:1]
	v_mul_f64 v[10:11], v[6:7], v[4:5]
	v_fma_f64 v[2:3], -v[2:3], v[10:11], v[6:7]
	v_div_fmas_f64 v[2:3], v[2:3], v[4:5], v[10:11]
	v_div_fixup_f64 v[0:1], v[2:3], v[48:49], v[0:1]
	v_div_scale_f64 v[2:3], null, v[38:39], v[38:39], 2.0
	v_rcp_f64_e32 v[4:5], v[2:3]
	v_fma_f64 v[6:7], -v[2:3], v[4:5], 1.0
	v_fma_f64 v[4:5], v[4:5], v[6:7], v[4:5]
	v_fma_f64 v[6:7], -v[2:3], v[4:5], 1.0
	v_fma_f64 v[4:5], v[4:5], v[6:7], v[4:5]
	v_div_scale_f64 v[6:7], vcc_lo, 2.0, v[38:39], 2.0
	v_mul_f64 v[10:11], v[6:7], v[4:5]
	v_fma_f64 v[2:3], -v[2:3], v[10:11], v[6:7]
	v_div_fmas_f64 v[2:3], v[2:3], v[4:5], v[10:11]
	v_add_f64 v[4:5], v[0:1], 1.0
	v_fma_f64 v[0:1], s[8:9], v[0:1], v[22:23]
	v_div_fixup_f64 v[2:3], v[2:3], v[38:39], 2.0
	v_fma_f64 v[2:3], v[2:3], v[4:5], 1.0
	s_waitcnt vmcnt(2)
	v_mul_f64 v[50:51], v[42:43], v[2:3]
	s_waitcnt vmcnt(0)
	v_div_scale_f64 v[2:3], null, v[38:39], v[38:39], v[12:13]
	v_rcp_f64_e32 v[4:5], v[2:3]
	v_fma_f64 v[6:7], -v[2:3], v[4:5], 1.0
	v_fma_f64 v[4:5], v[4:5], v[6:7], v[4:5]
	v_fma_f64 v[6:7], -v[2:3], v[4:5], 1.0
	v_fma_f64 v[4:5], v[4:5], v[6:7], v[4:5]
	v_div_scale_f64 v[6:7], vcc_lo, v[12:13], v[38:39], v[12:13]
	v_mul_f64 v[10:11], v[6:7], v[4:5]
	v_fma_f64 v[2:3], -v[2:3], v[10:11], v[6:7]
	v_div_fmas_f64 v[2:3], v[2:3], v[4:5], v[10:11]
	v_div_fixup_f64 v[2:3], v[2:3], v[38:39], v[12:13]
	v_add_f64 v[6:7], v[2:3], -1.0
	v_cmp_eq_f64_e32 vcc_lo, 1.0, v[6:7]
	v_frexp_mant_f64_e64 v[2:3], |v[6:7]|
	v_frexp_exp_i32_f64_e32 v4, v[6:7]
	v_cndmask_b32_e32 v27, 0x40080000, v73, vcc_lo
	v_cmp_gt_f64_e32 vcc_lo, s[0:1], v[2:3]
	v_cndmask_b32_e64 v5, 0, 1, vcc_lo
	v_subrev_co_ci_u32_e64 v19, null, 0, v4, vcc_lo
	v_ldexp_f64 v[2:3], v[2:3], v5
	v_add_f64 v[10:11], v[2:3], 1.0
	v_add_f64 v[4:5], v[2:3], -1.0
	v_add_f64 v[12:13], v[10:11], -1.0
	v_add_f64 v[2:3], v[2:3], -v[12:13]
	v_rcp_f64_e32 v[12:13], v[10:11]
	v_fma_f64 v[14:15], -v[10:11], v[12:13], 1.0
	v_fma_f64 v[12:13], v[14:15], v[12:13], v[12:13]
	v_fma_f64 v[14:15], -v[10:11], v[12:13], 1.0
	v_fma_f64 v[12:13], v[14:15], v[12:13], v[12:13]
	v_mul_f64 v[14:15], v[4:5], v[12:13]
	v_mul_f64 v[16:17], v[10:11], v[14:15]
	v_fma_f64 v[10:11], v[14:15], v[10:11], -v[16:17]
	v_fma_f64 v[2:3], v[14:15], v[2:3], v[10:11]
	v_add_f64 v[10:11], v[16:17], v[2:3]
	v_add_f64 v[24:25], v[4:5], -v[10:11]
	v_add_f64 v[16:17], v[10:11], -v[16:17]
	;; [unrolled: 1-line block ×5, first 2 shown]
	v_add_f64 v[2:3], v[2:3], v[4:5]
	v_add_f64 v[2:3], v[24:25], v[2:3]
	v_mul_f64 v[2:3], v[12:13], v[2:3]
	v_add_f64 v[4:5], v[14:15], v[2:3]
	v_add_f64 v[10:11], v[4:5], -v[14:15]
	v_add_f64 v[2:3], v[2:3], -v[10:11]
	v_mul_f64 v[10:11], v[4:5], v[4:5]
	v_add_f64 v[14:15], v[2:3], v[2:3]
	v_fma_f64 v[12:13], v[4:5], v[4:5], -v[10:11]
	v_ldexp_f64 v[32:33], v[2:3], 1
	v_fma_f64 v[12:13], v[4:5], v[14:15], v[12:13]
	v_add_f64 v[14:15], v[10:11], v[12:13]
	v_add_f64 v[10:11], v[14:15], -v[10:11]
	v_mul_f64 v[34:35], v[4:5], v[14:15]
	v_add_f64 v[12:13], v[12:13], -v[10:11]
	v_fma_f64 v[10:11], v[14:15], s[2:3], s[38:39]
	s_mov_b32 s2, 0x3abe935a
	s_mov_b32 s3, 0x3fbe25e4
	;; [unrolled: 1-line block ×4, first 2 shown]
	v_fma_f64 v[36:37], v[14:15], v[4:5], -v[34:35]
	v_fma_f64 v[10:11], v[14:15], v[10:11], s[2:3]
	s_mov_b32 s2, 0x47e6c9c2
	s_mov_b32 s3, 0x3fc110ef
	v_fma_f64 v[2:3], v[14:15], v[2:3], v[36:37]
	v_fma_f64 v[10:11], v[14:15], v[10:11], s[2:3]
	s_mov_b32 s2, 0xcfa74449
	s_mov_b32 s3, 0x3fc3b13b
	v_fma_f64 v[2:3], v[12:13], v[4:5], v[2:3]
	v_fma_f64 v[10:11], v[14:15], v[10:11], s[2:3]
	s_mov_b32 s2, 0x71bf3c30
	s_mov_b32 s3, 0x3fc745d1
	v_fma_f64 v[10:11], v[14:15], v[10:11], s[2:3]
	s_mov_b32 s2, 0x1c7792ce
	s_mov_b32 s3, 0x3fcc71c7
	v_fma_f64 v[10:11], v[14:15], v[10:11], s[2:3]
	s_mov_b32 s2, 0x924920da
	s_mov_b32 s3, 0x3fd24924
	v_fma_f64 v[10:11], v[14:15], v[10:11], s[2:3]
	;; [unrolled: 3-line block ×3, first 2 shown]
	v_cvt_f64_i32_e32 v[10:11], v19
	s_mov_b32 s2, 0xfefa39ef
	s_mov_b32 s3, 0x3fe62e42
	v_mul_f64 v[24:25], v[10:11], s[2:3]
	v_fma_f64 v[28:29], v[10:11], s[2:3], -v[24:25]
	v_fma_f64 v[10:11], v[10:11], s[38:39], v[28:29]
	s_mov_b32 s39, s1
	v_writelane_b32 v127, s38, 12
	v_writelane_b32 v127, s39, 13
	v_add_f64 v[28:29], v[24:25], v[10:11]
	v_add_f64 v[24:25], v[28:29], -v[24:25]
	v_add_f64 v[10:11], v[10:11], -v[24:25]
	v_ldexp_f64 v[24:25], v[4:5], 1
	v_add_f64 v[4:5], v[34:35], v[2:3]
	v_add_f64 v[34:35], v[4:5], -v[34:35]
	v_add_f64 v[2:3], v[2:3], -v[34:35]
	v_mul_f64 v[34:35], v[14:15], v[16:17]
	v_fma_f64 v[14:15], v[14:15], v[16:17], -v[34:35]
	v_fma_f64 v[12:13], v[12:13], v[16:17], v[14:15]
	v_add_f64 v[14:15], v[34:35], v[12:13]
	v_add_f64 v[16:17], v[14:15], -v[34:35]
	v_add_f64 v[12:13], v[12:13], -v[16:17]
	v_add_f64 v[16:17], v[14:15], s[0:1]
	v_readlane_b32 s0, v127, 4
	v_readlane_b32 s1, v127, 5
	s_mov_b32 s0, s24
	s_mov_b32 s3, s1
	v_writelane_b32 v127, s2, 4
	s_mov_b32 s86, s2
	v_writelane_b32 v127, s3, 5
	s_mov_b32 s2, 0x6a5dcb37
	s_mov_b32 s3, 0x3e5ade15
	v_add_f64 v[34:35], v[16:17], s[0:1]
	s_mov_b32 s0, 0xd5df274d
	s_mov_b32 s1, 0x3c8543b0
	v_add_f64 v[12:13], v[12:13], s[0:1]
	s_mov_b32 s0, 0x652b82fe
	s_mov_b32 s1, 0x3ff71547
	v_add_f64 v[14:15], v[14:15], -v[34:35]
	v_add_f64 v[12:13], v[12:13], v[14:15]
	v_add_f64 v[14:15], v[16:17], v[12:13]
	v_add_f64 v[16:17], v[16:17], -v[14:15]
	v_add_f64 v[12:13], v[12:13], v[16:17]
	v_mul_f64 v[16:17], v[4:5], v[14:15]
	v_fma_f64 v[34:35], v[4:5], v[14:15], -v[16:17]
	v_fma_f64 v[4:5], v[4:5], v[12:13], v[34:35]
	v_fma_f64 v[2:3], v[2:3], v[14:15], v[4:5]
	v_add_f64 v[4:5], v[16:17], v[2:3]
	v_add_f64 v[12:13], v[4:5], -v[16:17]
	v_add_f64 v[2:3], v[2:3], -v[12:13]
	v_add_f64 v[12:13], v[24:25], v[4:5]
	v_add_f64 v[2:3], v[32:33], v[2:3]
	v_add_f64 v[14:15], v[12:13], -v[24:25]
	v_add_f64 v[4:5], v[4:5], -v[14:15]
	v_add_f64 v[2:3], v[2:3], v[4:5]
	;; [unrolled: 4-line block ×3, first 2 shown]
	v_add_f64 v[14:15], v[12:13], -v[28:29]
	v_add_f64 v[16:17], v[12:13], -v[14:15]
	v_add_f64 v[4:5], v[4:5], -v[14:15]
	v_add_f64 v[14:15], v[10:11], v[2:3]
	v_add_f64 v[16:17], v[28:29], -v[16:17]
	v_add_f64 v[4:5], v[4:5], v[16:17]
	v_add_f64 v[16:17], v[14:15], -v[10:11]
	;; [unrolled: 2-line block ×3, first 2 shown]
	v_add_f64 v[2:3], v[2:3], -v[16:17]
	v_add_f64 v[10:11], v[10:11], -v[24:25]
	v_add_f64 v[2:3], v[2:3], v[10:11]
	v_add_f64 v[10:11], v[12:13], v[4:5]
	v_add_f64 v[12:13], v[10:11], -v[12:13]
	v_add_f64 v[4:5], v[4:5], -v[12:13]
	v_add_f64 v[2:3], v[2:3], v[4:5]
	v_add_f64 v[4:5], v[10:11], v[2:3]
	v_add_f64 v[10:11], v[4:5], -v[10:11]
	v_add_f64 v[2:3], v[2:3], -v[10:11]
	v_mul_f64 v[10:11], v[26:27], v[4:5]
	v_fma_f64 v[4:5], v[26:27], v[4:5], -v[10:11]
	v_cmp_class_f64_e64 vcc_lo, v[10:11], 0x204
	v_fma_f64 v[2:3], v[26:27], v[2:3], v[4:5]
	v_add_f64 v[4:5], v[10:11], v[2:3]
	v_add_f64 v[12:13], v[4:5], -v[10:11]
	v_cndmask_b32_e32 v5, v5, v11, vcc_lo
	v_cndmask_b32_e32 v4, v4, v10, vcc_lo
	v_mul_f64 v[10:11], v[4:5], s[0:1]
	v_readlane_b32 s0, v127, 6
	v_readlane_b32 s1, v127, 7
	v_cmp_neq_f64_e64 vcc_lo, 0x7ff00000, |v[4:5]|
	s_mov_b32 s39, s1
	v_writelane_b32 v127, s0, 6
	v_writelane_b32 v127, s1, 7
	s_mov_b32 s0, 0xfca7ab0c
	v_add_f64 v[2:3], v[2:3], -v[12:13]
	s_mov_b32 s1, 0x3e928af3
	v_rndne_f64_e32 v[10:11], v[10:11]
	v_cndmask_b32_e32 v3, 0, v3, vcc_lo
	v_cndmask_b32_e32 v2, 0, v2, vcc_lo
	v_cmp_nlt_f64_e32 vcc_lo, 0x40900000, v[4:5]
	v_fma_f64 v[12:13], v[10:11], s[86:87], v[4:5]
	v_fma_f64 v[12:13], v[10:11], s[38:39], v[12:13]
	v_cvt_i32_f64_e32 v10, v[10:11]
	v_fma_f64 v[14:15], v[12:13], s[2:3], s[0:1]
	s_mov_b32 s0, 0x623fde64
	s_mov_b32 s1, 0x3ec71dee
	v_fma_f64 v[14:15], v[12:13], v[14:15], s[0:1]
	s_mov_b32 s0, 0x7c89e6b0
	s_mov_b32 s1, 0x3efa0199
	;; [unrolled: 3-line block ×4, first 2 shown]
	v_fma_f64 v[14:15], v[12:13], v[14:15], s[0:1]
	v_readlane_b32 s0, v127, 8
	v_readlane_b32 s1, v127, 9
	s_mov_b32 s1, s37
	s_mov_b32 s2, s0
	v_writelane_b32 v127, s2, 8
	v_writelane_b32 v127, s3, 9
	v_fma_f64 v[14:15], v[12:13], v[14:15], s[0:1]
	s_mov_b32 s0, 0x55555511
	s_mov_b32 s1, 0x3fc55555
	v_fma_f64 v[14:15], v[12:13], v[14:15], s[84:85]
	v_fma_f64 v[14:15], v[12:13], v[14:15], s[0:1]
	s_mov_b32 s0, 11
	s_mov_b32 s1, 0x3fe00000
	v_fma_f64 v[14:15], v[12:13], v[14:15], s[0:1]
	v_cmp_ngt_f64_e64 s0, 0xc090cc00, v[4:5]
	v_cmp_gt_f64_e64 s1, 0, v[6:7]
	v_fma_f64 v[14:15], v[12:13], v[14:15], 1.0
	v_fma_f64 v[12:13], v[12:13], v[14:15], 1.0
	v_ldexp_f64 v[10:11], v[12:13], v10
	v_cndmask_b32_e32 v11, 0x7ff00000, v11, vcc_lo
	s_and_b32 vcc_lo, s0, vcc_lo
	v_cndmask_b32_e32 v4, 0, v10, vcc_lo
	v_cndmask_b32_e64 v5, 0, v11, s0
	v_fma_f64 v[2:3], v[4:5], v[2:3], v[4:5]
	v_cmp_class_f64_e64 vcc_lo, v[4:5], 0x204
	v_cndmask_b32_e32 v10, v2, v4, vcc_lo
	v_cndmask_b32_e32 v11, v3, v5, vcc_lo
	v_trunc_f64_e32 v[2:3], v[26:27]
	v_cmp_eq_f64_e32 vcc_lo, v[2:3], v[26:27]
	v_mul_f64 v[2:3], v[26:27], 0.5
	v_trunc_f64_e32 v[4:5], v[2:3]
	v_cmp_neq_f64_e64 s0, v[4:5], v[2:3]
	v_cndmask_b32_e32 v4, 0, v10, vcc_lo
	v_cndmask_b32_e64 v4, v10, v4, s1
	s_and_b32 s0, vcc_lo, s0
	v_cndmask_b32_e64 v2, 0x3ff00000, v7, s0
	v_cndmask_b32_e64 v5, 0, v7, s0
	v_bfi_b32 v2, 0x7fffffff, v11, v2
	v_cndmask_b32_e32 v3, 0x7ff80000, v2, vcc_lo
	v_cmp_eq_f64_e32 vcc_lo, 0, v[6:7]
	v_cndmask_b32_e64 v2, v2, v3, s1
	v_cmp_class_f64_e64 s1, v[6:7], 0x204
	v_cndmask_b32_e64 v3, 0x7ff00000, 0, vcc_lo
	s_or_b32 s1, vcc_lo, s1
	v_cmp_o_f64_e32 vcc_lo, v[6:7], v[6:7]
	v_bfi_b32 v3, 0x7fffffff, v3, v5
	v_cndmask_b32_e64 v3, v2, v3, s1
	v_cndmask_b32_e64 v2, v4, 0, s1
	v_cndmask_b32_e32 v2, 0, v2, vcc_lo
	v_cndmask_b32_e32 v3, 0x7ff80000, v3, vcc_lo
	v_cmp_gt_f64_e32 vcc_lo, 0x10000000, v[2:3]
	v_cndmask_b32_e64 v4, 0, 0x100, vcc_lo
	v_ldexp_f64 v[2:3], v[2:3], v4
	v_rsq_f64_e32 v[4:5], v[2:3]
	v_mul_f64 v[6:7], v[2:3], v[4:5]
	v_mul_f64 v[4:5], v[4:5], 0.5
	v_fma_f64 v[10:11], -v[4:5], v[6:7], 0.5
	v_fma_f64 v[6:7], v[6:7], v[10:11], v[6:7]
	v_fma_f64 v[4:5], v[4:5], v[10:11], v[4:5]
	v_fma_f64 v[12:13], -v[6:7], v[6:7], v[2:3]
	v_fma_f64 v[6:7], v[12:13], v[4:5], v[6:7]
	v_fma_f64 v[10:11], -v[6:7], v[6:7], v[2:3]
	v_fma_f64 v[4:5], v[10:11], v[4:5], v[6:7]
	v_cndmask_b32_e64 v6, 0, 0xffffff80, vcc_lo
	v_cmp_class_f64_e64 vcc_lo, v[2:3], 0x260
	v_ldexp_f64 v[4:5], v[4:5], v6
	v_cndmask_b32_e32 v3, v5, v3, vcc_lo
	v_cndmask_b32_e32 v2, v4, v2, vcc_lo
	s_clause 0x1
	buffer_load_dword v4, off, s[100:103], 0 offset:216
	buffer_load_dword v5, off, s[100:103], 0 offset:220
	s_waitcnt vmcnt(0)
	v_mul_f64 v[64:65], v[2:3], -v[4:5]
	v_div_scale_f64 v[2:3], null, v[38:39], v[38:39], v[42:43]
	v_rcp_f64_e32 v[4:5], v[2:3]
	v_fma_f64 v[6:7], -v[2:3], v[4:5], 1.0
	v_fma_f64 v[4:5], v[4:5], v[6:7], v[4:5]
	v_fma_f64 v[6:7], -v[2:3], v[4:5], 1.0
	v_fma_f64 v[4:5], v[4:5], v[6:7], v[4:5]
	v_div_scale_f64 v[6:7], vcc_lo, v[42:43], v[38:39], v[42:43]
	v_mul_f64 v[10:11], v[6:7], v[4:5]
	v_fma_f64 v[2:3], -v[2:3], v[10:11], v[6:7]
	v_div_fmas_f64 v[2:3], v[2:3], v[4:5], v[10:11]
	v_div_fixup_f64 v[2:3], v[2:3], v[38:39], v[42:43]
	v_div_scale_f64 v[4:5], null, v[38:39], v[38:39], v[2:3]
	v_rcp_f64_e32 v[6:7], v[4:5]
	v_fma_f64 v[10:11], -v[4:5], v[6:7], 1.0
	v_fma_f64 v[6:7], v[6:7], v[10:11], v[6:7]
	v_fma_f64 v[10:11], -v[4:5], v[6:7], 1.0
	v_fma_f64 v[6:7], v[6:7], v[10:11], v[6:7]
	v_div_scale_f64 v[10:11], vcc_lo, v[2:3], v[38:39], v[2:3]
	v_mul_f64 v[12:13], v[10:11], v[6:7]
	v_fma_f64 v[4:5], -v[4:5], v[12:13], v[10:11]
	v_div_fmas_f64 v[4:5], v[4:5], v[6:7], v[12:13]
	v_div_fixup_f64 v[2:3], v[4:5], v[38:39], v[2:3]
	v_mul_f64 v[68:69], v[2:3], v[0:1]
.LBB1_160:                              ;   in Loop: Header=BB1_79 Depth=1
	s_or_b32 exec_lo, exec_lo, s48
                                        ; implicit-def: $vgpr32
                                        ; implicit-def: $vgpr76_vgpr77
                                        ; implicit-def: $vgpr78_vgpr79
	s_and_saveexec_b32 s0, s4
	s_xor_b32 s0, exec_lo, s0
	s_cbranch_execz .LBB1_162
; %bb.161:                              ;   in Loop: Header=BB1_79 Depth=1
	s_clause 0x1
	buffer_load_dword v0, off, s[100:103], 0
	buffer_load_dword v1, off, s[100:103], 0 offset:4
	s_mov_b32 s92, s94
	s_mov_b32 s99, s97
	s_waitcnt vmcnt(0)
	v_cmp_le_f64_e64 vcc_lo, 0x7b000000, |v[0:1]|
	v_cndmask_b32_e32 v1, v18, v75, vcc_lo
	v_cndmask_b32_e32 v0, v0, v74, vcc_lo
	v_mul_f64 v[4:5], v[71:72], v[0:1]
	v_mul_f64 v[2:3], v[20:21], v[0:1]
	v_fma_f64 v[6:7], v[71:72], v[0:1], -v[4:5]
	v_add_f64 v[10:11], v[2:3], v[6:7]
	v_add_f64 v[24:25], v[10:11], -v[2:3]
	v_add_f64 v[12:13], v[4:5], v[10:11]
	v_add_f64 v[6:7], v[6:7], -v[24:25]
	v_add_f64 v[24:25], v[10:11], -v[24:25]
	v_ldexp_f64 v[14:15], v[12:13], -2
	v_add_f64 v[4:5], v[12:13], -v[4:5]
	v_add_f64 v[24:25], v[2:3], -v[24:25]
	v_fma_f64 v[2:3], v[20:21], v[0:1], -v[2:3]
	v_add_f64 v[4:5], v[10:11], -v[4:5]
	v_fract_f64_e32 v[16:17], v[14:15]
	v_cmp_neq_f64_e64 vcc_lo, 0x7ff00000, |v[14:15]|
	v_add_f64 v[6:7], v[6:7], v[24:25]
	v_mul_f64 v[24:25], v[66:67], v[0:1]
	v_add_f64 v[27:28], v[24:25], v[2:3]
	v_fma_f64 v[0:1], v[66:67], v[0:1], -v[24:25]
	v_add_f64 v[32:33], v[27:28], v[6:7]
	v_add_f64 v[12:13], v[32:33], -v[27:28]
	v_add_f64 v[10:11], v[4:5], v[32:33]
	v_add_f64 v[6:7], v[6:7], -v[12:13]
	v_add_f64 v[12:13], v[32:33], -v[12:13]
	;; [unrolled: 1-line block ×5, first 2 shown]
	v_add_f64 v[6:7], v[6:7], v[12:13]
	v_add_f64 v[12:13], v[27:28], -v[24:25]
	v_add_f64 v[2:3], v[2:3], -v[12:13]
	;; [unrolled: 1-line block ×4, first 2 shown]
	v_add_f64 v[2:3], v[2:3], v[12:13]
	v_add_f64 v[2:3], v[2:3], v[6:7]
	;; [unrolled: 1-line block ×3, first 2 shown]
	v_ldexp_f64 v[2:3], v[16:17], 2
	v_add_f64 v[0:1], v[4:5], v[0:1]
	v_cndmask_b32_e32 v3, 0, v3, vcc_lo
	v_cndmask_b32_e32 v2, 0, v2, vcc_lo
	v_add_f64 v[4:5], v[10:11], v[2:3]
	v_cmp_gt_f64_e32 vcc_lo, 0, v[4:5]
	v_cndmask_b32_e64 v27, 0, 0x40100000, vcc_lo
	v_add_f64 v[2:3], v[2:3], v[26:27]
	v_add_f64 v[4:5], v[10:11], v[2:3]
	v_cvt_i32_f64_e32 v6, v[4:5]
	v_cvt_f64_i32_e32 v[4:5], v6
	v_add_f64 v[2:3], v[2:3], -v[4:5]
	v_add_f64 v[4:5], v[10:11], v[2:3]
	v_add_f64 v[2:3], v[4:5], -v[2:3]
	v_cmp_le_f64_e32 vcc_lo, 0.5, v[4:5]
	v_add_f64 v[2:3], v[10:11], -v[2:3]
	v_cndmask_b32_e64 v27, 0, 0x3ff00000, vcc_lo
	v_add_co_ci_u32_e64 v32, null, 0, v6, vcc_lo
	v_add_f64 v[0:1], v[0:1], v[2:3]
	v_add_f64 v[2:3], v[4:5], -v[26:27]
	v_add_f64 v[4:5], v[2:3], v[0:1]
	v_add_f64 v[2:3], v[4:5], -v[2:3]
	v_add_f64 v[0:1], v[0:1], -v[2:3]
	v_mul_f64 v[2:3], v[4:5], s[92:93]
	v_fma_f64 v[6:7], v[4:5], s[92:93], -v[2:3]
	v_fma_f64 v[4:5], v[4:5], s[98:99], v[6:7]
	v_fma_f64 v[0:1], v[0:1], s[92:93], v[4:5]
	v_add_f64 v[76:77], v[2:3], v[0:1]
	v_add_f64 v[2:3], v[76:77], -v[2:3]
	v_add_f64 v[78:79], v[0:1], -v[2:3]
	s_mov_b32 s48, s84
	s_andn2_saveexec_b32 s0, s0
	s_cbranch_execz .LBB1_164
	s_branch .LBB1_163
.LBB1_162:                              ;   in Loop: Header=BB1_79 Depth=1
	s_mov_b32 s48, s84
	s_andn2_saveexec_b32 s0, s0
	s_cbranch_execz .LBB1_164
.LBB1_163:                              ;   in Loop: Header=BB1_79 Depth=1
	s_clause 0x1
	buffer_load_dword v2, off, s[100:103], 0
	buffer_load_dword v3, off, s[100:103], 0 offset:4
	s_mov_b32 s96, s16
	s_waitcnt vmcnt(0)
	v_mul_f64 v[0:1], |v[2:3]|, s[6:7]
	v_rndne_f64_e32 v[0:1], v[0:1]
	v_fma_f64 v[2:3], v[0:1], s[94:95], |v[2:3]|
	v_mul_f64 v[4:5], v[0:1], s[16:17]
	v_cvt_i32_f64_e32 v32, v[0:1]
	v_fma_f64 v[10:11], v[0:1], s[16:17], v[2:3]
	v_add_f64 v[6:7], v[2:3], v[4:5]
	v_add_f64 v[2:3], v[2:3], -v[6:7]
	v_add_f64 v[6:7], v[6:7], -v[10:11]
	v_add_f64 v[2:3], v[2:3], v[4:5]
	v_fma_f64 v[4:5], v[0:1], s[96:97], v[4:5]
	v_add_f64 v[2:3], v[6:7], v[2:3]
	v_add_f64 v[2:3], v[2:3], -v[4:5]
	v_fma_f64 v[2:3], v[0:1], s[10:11], v[2:3]
	v_add_f64 v[76:77], v[10:11], v[2:3]
	v_add_f64 v[4:5], v[76:77], -v[10:11]
	v_add_f64 v[78:79], v[2:3], -v[4:5]
.LBB1_164:                              ;   in Loop: Header=BB1_79 Depth=1
	s_or_b32 exec_lo, exec_lo, s0
                                        ; implicit-def: $vgpr33
                                        ; implicit-def: $vgpr0_vgpr1
                                        ; implicit-def: $vgpr12_vgpr13
	s_and_saveexec_b32 s0, s4
	s_xor_b32 s0, exec_lo, s0
	s_cbranch_execz .LBB1_166
; %bb.165:                              ;   in Loop: Header=BB1_79 Depth=1
	s_clause 0x1
	buffer_load_dword v0, off, s[100:103], 0
	buffer_load_dword v1, off, s[100:103], 0 offset:4
	s_mov_b32 s92, s94
	s_mov_b32 s99, s97
	s_waitcnt vmcnt(0)
	v_cmp_le_f64_e64 vcc_lo, 0x7b000000, |v[0:1]|
	v_cndmask_b32_e32 v1, v18, v75, vcc_lo
	v_cndmask_b32_e32 v0, v0, v74, vcc_lo
	v_mul_f64 v[4:5], v[71:72], v[0:1]
	v_mul_f64 v[2:3], v[20:21], v[0:1]
	v_fma_f64 v[6:7], v[71:72], v[0:1], -v[4:5]
	v_add_f64 v[10:11], v[2:3], v[6:7]
	v_add_f64 v[18:19], v[10:11], -v[2:3]
	v_add_f64 v[12:13], v[4:5], v[10:11]
	v_add_f64 v[6:7], v[6:7], -v[18:19]
	v_add_f64 v[18:19], v[10:11], -v[18:19]
	v_ldexp_f64 v[14:15], v[12:13], -2
	v_add_f64 v[4:5], v[12:13], -v[4:5]
	v_add_f64 v[18:19], v[2:3], -v[18:19]
	v_fma_f64 v[2:3], v[20:21], v[0:1], -v[2:3]
	v_add_f64 v[4:5], v[10:11], -v[4:5]
	v_fract_f64_e32 v[16:17], v[14:15]
	v_cmp_neq_f64_e64 vcc_lo, 0x7ff00000, |v[14:15]|
	v_add_f64 v[6:7], v[6:7], v[18:19]
	v_mul_f64 v[18:19], v[66:67], v[0:1]
	v_add_f64 v[24:25], v[18:19], v[2:3]
	v_fma_f64 v[0:1], v[66:67], v[0:1], -v[18:19]
	v_add_f64 v[27:28], v[24:25], v[6:7]
	v_add_f64 v[12:13], v[27:28], -v[24:25]
	v_add_f64 v[10:11], v[4:5], v[27:28]
	v_add_f64 v[6:7], v[6:7], -v[12:13]
	v_add_f64 v[12:13], v[27:28], -v[12:13]
	;; [unrolled: 1-line block ×5, first 2 shown]
	v_add_f64 v[6:7], v[6:7], v[12:13]
	v_add_f64 v[12:13], v[24:25], -v[18:19]
	v_add_f64 v[2:3], v[2:3], -v[12:13]
	;; [unrolled: 1-line block ×4, first 2 shown]
	v_add_f64 v[2:3], v[2:3], v[12:13]
	v_add_f64 v[2:3], v[2:3], v[6:7]
	;; [unrolled: 1-line block ×3, first 2 shown]
	v_ldexp_f64 v[2:3], v[16:17], 2
	v_add_f64 v[0:1], v[4:5], v[0:1]
	v_cndmask_b32_e32 v3, 0, v3, vcc_lo
	v_cndmask_b32_e32 v2, 0, v2, vcc_lo
	v_add_f64 v[4:5], v[10:11], v[2:3]
	v_cmp_gt_f64_e32 vcc_lo, 0, v[4:5]
	v_cndmask_b32_e64 v27, 0, 0x40100000, vcc_lo
	v_add_f64 v[2:3], v[2:3], v[26:27]
	v_add_f64 v[4:5], v[10:11], v[2:3]
	v_cvt_i32_f64_e32 v6, v[4:5]
	v_cvt_f64_i32_e32 v[4:5], v6
	v_add_f64 v[2:3], v[2:3], -v[4:5]
	v_add_f64 v[4:5], v[10:11], v[2:3]
	v_add_f64 v[2:3], v[4:5], -v[2:3]
	v_cmp_le_f64_e32 vcc_lo, 0.5, v[4:5]
	v_add_f64 v[2:3], v[10:11], -v[2:3]
	v_cndmask_b32_e64 v27, 0, 0x3ff00000, vcc_lo
	v_add_co_ci_u32_e64 v33, null, 0, v6, vcc_lo
	v_add_f64 v[0:1], v[0:1], v[2:3]
	v_add_f64 v[2:3], v[4:5], -v[26:27]
	v_add_f64 v[4:5], v[2:3], v[0:1]
	v_add_f64 v[2:3], v[4:5], -v[2:3]
	v_add_f64 v[0:1], v[0:1], -v[2:3]
	v_mul_f64 v[2:3], v[4:5], s[92:93]
	v_fma_f64 v[6:7], v[4:5], s[92:93], -v[2:3]
	v_fma_f64 v[4:5], v[4:5], s[98:99], v[6:7]
	v_fma_f64 v[4:5], v[0:1], s[92:93], v[4:5]
	v_add_f64 v[0:1], v[2:3], v[4:5]
	v_add_f64 v[2:3], v[0:1], -v[2:3]
	v_add_f64 v[12:13], v[4:5], -v[2:3]
	s_mov_b32 s85, s87
	s_andn2_saveexec_b32 s0, s0
	s_cbranch_execnz .LBB1_167
	s_branch .LBB1_168
.LBB1_166:                              ;   in Loop: Header=BB1_79 Depth=1
	s_mov_b32 s85, s87
	s_andn2_saveexec_b32 s0, s0
	s_cbranch_execz .LBB1_168
.LBB1_167:                              ;   in Loop: Header=BB1_79 Depth=1
	s_clause 0x1
	buffer_load_dword v4, off, s[100:103], 0
	buffer_load_dword v5, off, s[100:103], 0 offset:4
	s_mov_b32 s96, s16
	s_waitcnt vmcnt(0)
	v_mul_f64 v[0:1], |v[4:5]|, s[6:7]
	v_rndne_f64_e32 v[2:3], v[0:1]
	v_fma_f64 v[0:1], v[2:3], s[94:95], |v[4:5]|
	v_mul_f64 v[4:5], v[2:3], s[16:17]
	v_cvt_i32_f64_e32 v33, v[2:3]
	v_fma_f64 v[10:11], v[2:3], s[16:17], v[0:1]
	v_add_f64 v[6:7], v[0:1], v[4:5]
	v_add_f64 v[0:1], v[0:1], -v[6:7]
	v_add_f64 v[6:7], v[6:7], -v[10:11]
	v_add_f64 v[0:1], v[0:1], v[4:5]
	v_fma_f64 v[4:5], v[2:3], s[96:97], v[4:5]
	v_add_f64 v[0:1], v[6:7], v[0:1]
	v_add_f64 v[0:1], v[0:1], -v[4:5]
	v_fma_f64 v[4:5], v[2:3], s[10:11], v[0:1]
	v_add_f64 v[0:1], v[10:11], v[4:5]
	v_add_f64 v[6:7], v[0:1], -v[10:11]
	v_add_f64 v[12:13], v[4:5], -v[6:7]
.LBB1_168:                              ;   in Loop: Header=BB1_79 Depth=1
	s_or_b32 exec_lo, exec_lo, s0
	v_mov_b32_e32 v36, v40
	v_mov_b32_e32 v37, v41
	v_readlane_b32 s0, v127, 12
	v_readlane_b32 s1, v127, 13
	s_mov_b32 s0, s24
	s_mov_b32 s2, 0x968915a9
	v_frexp_mant_f64_e64 v[2:3], |v[36:37]|
	s_mov_b32 s38, 0x4222de17
	s_mov_b32 s3, 0x3fba6564
	;; [unrolled: 1-line block ×6, first 2 shown]
	v_cmp_gt_f64_e64 s58, 0, v[36:37]
	s_mov_b32 s92, s48
	v_cmp_gt_f64_e32 vcc_lo, s[0:1], v[2:3]
	v_cndmask_b32_e64 v4, 0, 1, vcc_lo
	v_ldexp_f64 v[2:3], v[2:3], v4
	v_add_f64 v[4:5], v[2:3], 1.0
	v_add_f64 v[14:15], v[2:3], -1.0
	v_rcp_f64_e32 v[6:7], v[4:5]
	v_add_f64 v[16:17], v[4:5], -1.0
	v_add_f64 v[2:3], v[2:3], -v[16:17]
	v_fma_f64 v[10:11], -v[4:5], v[6:7], 1.0
	v_fma_f64 v[6:7], v[10:11], v[6:7], v[6:7]
	v_fma_f64 v[10:11], -v[4:5], v[6:7], 1.0
	v_fma_f64 v[6:7], v[10:11], v[6:7], v[6:7]
	v_mul_f64 v[10:11], v[14:15], v[6:7]
	v_mul_f64 v[18:19], v[4:5], v[10:11]
	v_fma_f64 v[4:5], v[10:11], v[4:5], -v[18:19]
	v_fma_f64 v[2:3], v[10:11], v[2:3], v[4:5]
	v_add_f64 v[4:5], v[18:19], v[2:3]
	v_add_f64 v[16:17], v[14:15], -v[4:5]
	v_add_f64 v[18:19], v[4:5], -v[18:19]
	;; [unrolled: 1-line block ×5, first 2 shown]
	v_add_f64 v[2:3], v[2:3], v[4:5]
	v_add_f64 v[2:3], v[16:17], v[2:3]
	v_mul_f64 v[2:3], v[6:7], v[2:3]
	v_add_f64 v[4:5], v[10:11], v[2:3]
	v_add_f64 v[6:7], v[4:5], -v[10:11]
	v_mul_f64 v[10:11], v[4:5], v[4:5]
	v_add_f64 v[2:3], v[2:3], -v[6:7]
	v_fma_f64 v[6:7], v[4:5], v[4:5], -v[10:11]
	v_add_f64 v[14:15], v[2:3], v[2:3]
	v_fma_f64 v[6:7], v[4:5], v[14:15], v[6:7]
	v_add_f64 v[14:15], v[10:11], v[6:7]
	v_fma_f64 v[16:17], v[14:15], s[38:39], s[2:3]
	s_mov_b32 s2, 0x3abe935a
	s_mov_b32 s3, 0x3fbe25e4
	v_add_f64 v[10:11], v[14:15], -v[10:11]
	v_mul_f64 v[27:28], v[4:5], v[14:15]
	s_mov_b32 s38, 0x3b39803f
	s_mov_b32 s39, 0x3c7abc9e
	v_fma_f64 v[16:17], v[14:15], v[16:17], s[2:3]
	s_mov_b32 s2, 0x47e6c9c2
	s_mov_b32 s3, 0x3fc110ef
	v_add_f64 v[6:7], v[6:7], -v[10:11]
	v_fma_f64 v[16:17], v[14:15], v[16:17], s[2:3]
	s_mov_b32 s2, 0xcfa74449
	s_mov_b32 s3, 0x3fc3b13b
	v_fma_f64 v[16:17], v[14:15], v[16:17], s[2:3]
	s_mov_b32 s2, 0x71bf3c30
	s_mov_b32 s3, 0x3fc745d1
	;; [unrolled: 3-line block ×5, first 2 shown]
	v_fma_f64 v[16:17], v[14:15], v[16:17], s[2:3]
	v_cmp_eq_f64_e64 s2, 1.0, v[36:37]
	v_cmp_eq_f64_e64 s3, 0, v[36:37]
	v_mul_f64 v[18:19], v[14:15], v[16:17]
	v_fma_f64 v[10:11], v[14:15], v[16:17], -v[18:19]
	v_fma_f64 v[10:11], v[6:7], v[16:17], v[10:11]
	v_add_f64 v[16:17], v[18:19], v[10:11]
	v_add_f64 v[24:25], v[16:17], s[0:1]
	v_add_f64 v[18:19], v[16:17], -v[18:19]
	v_readlane_b32 s0, v127, 4
	v_readlane_b32 s1, v127, 5
	s_mov_b32 s0, s24
	s_mov_b32 s69, s1
	v_add_f64 v[34:35], v[24:25], s[0:1]
	v_add_f64 v[10:11], v[10:11], -v[18:19]
	v_fma_f64 v[18:19], v[14:15], v[4:5], -v[27:28]
	s_mov_b32 s0, 0xd5df274d
	s_mov_b32 s1, 0x3c8543b0
	v_add_f64 v[16:17], v[16:17], -v[34:35]
	v_add_f64 v[10:11], v[10:11], s[0:1]
	v_fma_f64 v[14:15], v[14:15], v[2:3], v[18:19]
	s_mov_b32 s0, 0xfefa39ef
	s_mov_b32 s1, 0x3fe62e42
	v_ldexp_f64 v[2:3], v[2:3], 1
	v_add_f64 v[10:11], v[10:11], v[16:17]
	v_fma_f64 v[6:7], v[6:7], v[4:5], v[14:15]
	v_ldexp_f64 v[4:5], v[4:5], 1
	v_add_f64 v[14:15], v[24:25], v[10:11]
	v_add_f64 v[16:17], v[27:28], v[6:7]
	v_add_f64 v[18:19], v[24:25], -v[14:15]
	v_mul_f64 v[24:25], v[16:17], v[14:15]
	v_add_f64 v[27:28], v[16:17], -v[27:28]
	v_add_f64 v[10:11], v[10:11], v[18:19]
	v_fma_f64 v[18:19], v[16:17], v[14:15], -v[24:25]
	v_add_f64 v[6:7], v[6:7], -v[27:28]
	v_fma_f64 v[10:11], v[16:17], v[10:11], v[18:19]
	v_fma_f64 v[6:7], v[6:7], v[14:15], v[10:11]
	v_frexp_exp_i32_f64_e32 v14, v[36:37]
	v_add_f64 v[10:11], v[24:25], v[6:7]
	v_subrev_co_ci_u32_e64 v14, null, 0, v14, vcc_lo
	v_cvt_f64_i32_e32 v[14:15], v14
	v_add_f64 v[16:17], v[4:5], v[10:11]
	v_add_f64 v[18:19], v[10:11], -v[24:25]
	v_mul_f64 v[24:25], v[14:15], s[0:1]
	v_add_f64 v[4:5], v[16:17], -v[4:5]
	v_add_f64 v[6:7], v[6:7], -v[18:19]
	v_fma_f64 v[18:19], v[14:15], s[0:1], -v[24:25]
	v_add_f64 v[4:5], v[10:11], -v[4:5]
	v_add_f64 v[2:3], v[2:3], v[6:7]
	v_fma_f64 v[6:7], v[14:15], s[38:39], v[18:19]
	v_add_f64 v[2:3], v[2:3], v[4:5]
	v_add_f64 v[4:5], v[24:25], v[6:7]
	;; [unrolled: 1-line block ×3, first 2 shown]
	v_add_f64 v[24:25], v[4:5], -v[24:25]
	v_add_f64 v[14:15], v[4:5], v[10:11]
	v_add_f64 v[16:17], v[10:11], -v[16:17]
	v_add_f64 v[6:7], v[6:7], -v[24:25]
	;; [unrolled: 1-line block ×6, first 2 shown]
	v_add_f64 v[16:17], v[6:7], v[2:3]
	v_add_f64 v[4:5], v[4:5], -v[27:28]
	v_add_f64 v[4:5], v[10:11], v[4:5]
	v_add_f64 v[10:11], v[16:17], -v[6:7]
	;; [unrolled: 2-line block ×3, first 2 shown]
	v_add_f64 v[2:3], v[2:3], -v[10:11]
	v_add_f64 v[18:19], v[14:15], v[4:5]
	v_add_f64 v[6:7], v[6:7], -v[16:17]
	v_add_f64 v[10:11], v[18:19], -v[14:15]
	v_add_f64 v[2:3], v[2:3], v[6:7]
	v_add_f64 v[4:5], v[4:5], -v[10:11]
	v_add_f64 v[2:3], v[2:3], v[4:5]
	v_cndmask_b32_e64 v5, 0xbfeae147, v73, s2
	v_cndmask_b32_e64 v4, 0xae147ae1, 0, s2
                                        ; implicit-def: $vgpr72_vgpr73
	v_cmp_gt_f64_e64 s4, 0, v[4:5]
	v_add_f64 v[10:11], v[18:19], v[2:3]
	v_add_f64 v[6:7], v[10:11], -v[18:19]
	v_mul_f64 v[14:15], v[4:5], v[10:11]
	v_add_f64 v[18:19], v[2:3], -v[6:7]
	v_fma_f64 v[2:3], v[4:5], v[10:11], -v[14:15]
	v_cmp_class_f64_e64 vcc_lo, v[14:15], 0x204
	v_fma_f64 v[2:3], v[4:5], v[18:19], v[2:3]
	v_add_f64 v[6:7], v[14:15], v[2:3]
	v_cndmask_b32_e32 v17, v7, v15, vcc_lo
	v_cndmask_b32_e32 v16, v6, v14, vcc_lo
	v_add_f64 v[6:7], v[6:7], -v[14:15]
	v_mul_f64 v[24:25], v[16:17], s[70:71]
	s_mov_b32 s71, s85
	s_mov_b32 s70, s0
	v_readlane_b32 s84, v127, 6
	v_readlane_b32 s85, v127, 7
	s_mov_b32 s0, 0xfca7ab0c
	s_mov_b32 s1, 0x3e928af3
	v_cmp_neq_f64_e64 vcc_lo, 0x7ff00000, |v[16:17]|
	s_mov_b32 s39, s85
	v_add_f64 v[2:3], v[2:3], -v[6:7]
	v_mul_f64 v[6:7], v[4:5], 0.5
	v_rndne_f64_e32 v[24:25], v[24:25]
	v_cndmask_b32_e32 v3, 0, v3, vcc_lo
	v_cndmask_b32_e32 v2, 0, v2, vcc_lo
	v_fma_f64 v[27:28], v[24:25], s[70:71], v[16:17]
	v_cvt_i32_f64_e32 v29, v[24:25]
	v_fma_f64 v[27:28], v[24:25], s[38:39], v[27:28]
	s_mov_b32 s38, 0x6a5dcb37
	s_mov_b32 s39, 0x3e5ade15
	v_fma_f64 v[34:35], v[27:28], s[38:39], s[0:1]
	s_mov_b32 s0, 0x623fde64
	s_mov_b32 s1, 0x3ec71dee
	;; [unrolled: 3-line block ×5, first 2 shown]
	v_fma_f64 v[34:35], v[27:28], v[34:35], s[0:1]
	v_readlane_b32 s0, v127, 8
	v_readlane_b32 s1, v127, 9
	s_mov_b32 s1, s37
	s_mov_b32 s84, s0
	v_fma_f64 v[34:35], v[27:28], v[34:35], s[0:1]
	s_mov_b32 s0, s48
	s_mov_b32 s1, s25
	v_fma_f64 v[34:35], v[27:28], v[34:35], s[0:1]
	;; [unrolled: 3-line block ×4, first 2 shown]
	v_cmp_nlt_f64_e64 s0, 0x40900000, v[16:17]
	v_cmp_ngt_f64_e64 s1, 0xc090cc00, v[16:17]
	v_trunc_f64_e32 v[16:17], v[6:7]
	v_fma_f64 v[34:35], v[27:28], v[34:35], 1.0
	s_and_b32 vcc_lo, s1, s0
	v_fma_f64 v[24:25], v[27:28], v[34:35], 1.0
	v_ldexp_f64 v[14:15], v[24:25], v29
	v_trunc_f64_e32 v[24:25], v[4:5]
	v_cndmask_b32_e64 v15, 0x7ff00000, v15, s0
	v_cndmask_b32_e32 v14, 0, v14, vcc_lo
	v_cmp_neq_f64_e32 vcc_lo, v[16:17], v[6:7]
	v_cndmask_b32_e64 v15, 0, v15, s1
	v_cmp_eq_f64_e64 s1, v[24:25], v[4:5]
	v_fma_f64 v[2:3], v[14:15], v[2:3], v[14:15]
	v_cmp_class_f64_e64 s0, v[14:15], 0x204
	s_and_b32 vcc_lo, s1, vcc_lo
	v_cndmask_b32_e32 v7, 0x3ff00000, v37, vcc_lo
	v_cndmask_b32_e64 v2, v2, v14, s0
	v_cndmask_b32_e64 v3, v3, v15, s0
	v_cmp_class_f64_e64 s0, v[36:37], 0x204
	v_cndmask_b32_e64 v6, 0, v2, s1
	v_bfi_b32 v3, 0x7fffffff, v3, v7
	v_cndmask_b32_e32 v7, 0, v37, vcc_lo
	v_cndmask_b32_e64 v2, v2, v6, s58
	v_cndmask_b32_e64 v4, 0x7ff80000, v3, s1
	s_xor_b32 s1, s3, s4
	v_cndmask_b32_e64 v5, 0x7ff00000, 0, s1
	v_cndmask_b32_e64 v3, v3, v4, s58
	v_bfi_b32 v4, 0x7fffffff, v5, v7
	s_or_b32 s88, s3, s0
	s_mov_b32 s0, 0x12000000
	v_cndmask_b32_e64 v2, v2, 0, s88
	v_cndmask_b32_e64 v3, v3, v4, s88
	s_mov_b32 s1, 0x4243ca65
	v_mul_f64 v[66:67], v[2:3], s[0:1]
	s_mov_b32 s0, 0x9cd9fbd6
	s_mov_b32 s1, 0x3ca3e5ba
	v_mul_f64 v[2:3], v[66:67], s[0:1]
	s_mov_b32 s0, 0x635807cb
	s_mov_b32 s1, 0x3a520b02
	v_div_scale_f64 v[4:5], null, s[0:1], s[0:1], v[2:3]
	v_div_scale_f64 v[16:17], vcc_lo, v[2:3], s[0:1], v[2:3]
	v_rcp_f64_e32 v[6:7], v[4:5]
	v_fma_f64 v[14:15], -v[4:5], v[6:7], 1.0
	v_fma_f64 v[6:7], v[6:7], v[14:15], v[6:7]
	v_fma_f64 v[14:15], -v[4:5], v[6:7], 1.0
	v_fma_f64 v[6:7], v[6:7], v[14:15], v[6:7]
	v_mul_f64 v[14:15], v[16:17], v[6:7]
	v_fma_f64 v[4:5], -v[4:5], v[14:15], v[16:17]
	v_div_fmas_f64 v[4:5], v[4:5], v[6:7], v[14:15]
	v_div_fixup_f64 v[2:3], v[4:5], s[0:1], v[2:3]
	s_mov_b32 s0, 0xf3a00000
	s_mov_b32 s1, 0x421beb9b
	v_div_scale_f64 v[4:5], null, s[0:1], s[0:1], v[2:3]
	v_div_scale_f64 v[16:17], vcc_lo, v[2:3], s[0:1], v[2:3]
	v_rcp_f64_e32 v[6:7], v[4:5]
	v_fma_f64 v[14:15], -v[4:5], v[6:7], 1.0
	v_fma_f64 v[6:7], v[6:7], v[14:15], v[6:7]
	v_fma_f64 v[14:15], -v[4:5], v[6:7], 1.0
	v_fma_f64 v[6:7], v[6:7], v[14:15], v[6:7]
	v_mul_f64 v[14:15], v[16:17], v[6:7]
	v_fma_f64 v[4:5], -v[4:5], v[14:15], v[16:17]
	v_div_fmas_f64 v[4:5], v[4:5], v[6:7], v[14:15]
	v_div_fixup_f64 v[2:3], v[4:5], s[0:1], v[2:3]
	v_div_scale_f64 v[4:5], null, s[0:1], s[0:1], v[2:3]
	v_rcp_f64_e32 v[6:7], v[4:5]
	v_fma_f64 v[14:15], -v[4:5], v[6:7], 1.0
	v_fma_f64 v[6:7], v[6:7], v[14:15], v[6:7]
	v_fma_f64 v[14:15], -v[4:5], v[6:7], 1.0
	v_fma_f64 v[6:7], v[6:7], v[14:15], v[6:7]
	v_div_scale_f64 v[14:15], vcc_lo, v[2:3], s[0:1], v[2:3]
	v_mul_f64 v[16:17], v[14:15], v[6:7]
	v_fma_f64 v[4:5], -v[4:5], v[16:17], v[14:15]
	v_div_fmas_f64 v[4:5], v[4:5], v[6:7], v[16:17]
	v_div_fixup_f64 v[20:21], v[4:5], s[0:1], v[2:3]
	s_mov_b32 s0, exec_lo
	v_cmpx_nlt_f64_e32 0x40554000, v[20:21]
	s_xor_b32 s48, exec_lo, s0
	s_cbranch_execz .LBB1_172
; %bb.169:                              ;   in Loop: Header=BB1_79 Depth=1
	s_clause 0x1
	buffer_load_dword v72, off, s[100:103], 0 offset:224
	buffer_load_dword v73, off, s[100:103], 0 offset:228
	s_mov_b32 s62, s44
	s_mov_b32 s54, exec_lo
	v_cmpx_ngt_f64_e32 s[62:63], v[20:21]
	s_cbranch_execz .LBB1_171
; %bb.170:                              ;   in Loop: Header=BB1_79 Depth=1
	v_div_scale_f64 v[2:3], null, s[62:63], s[62:63], v[20:21]
	s_mov_b32 s1, s99
	s_mov_b32 s0, s24
	;; [unrolled: 1-line block ×8, first 2 shown]
	v_rcp_f64_e32 v[4:5], v[2:3]
	v_fma_f64 v[6:7], -v[2:3], v[4:5], 1.0
	v_fma_f64 v[4:5], v[4:5], v[6:7], v[4:5]
	v_fma_f64 v[6:7], -v[2:3], v[4:5], 1.0
	v_fma_f64 v[4:5], v[4:5], v[6:7], v[4:5]
	v_div_scale_f64 v[6:7], vcc_lo, v[20:21], s[62:63], v[20:21]
	v_mul_f64 v[14:15], v[6:7], v[4:5]
	v_fma_f64 v[2:3], -v[2:3], v[14:15], v[6:7]
	v_div_fmas_f64 v[2:3], v[2:3], v[4:5], v[14:15]
	v_div_fixup_f64 v[6:7], v[2:3], s[62:63], v[20:21]
	v_frexp_mant_f64_e32 v[2:3], v[6:7]
	v_frexp_exp_i32_f64_e32 v4, v[6:7]
	v_cmp_gt_f64_e32 vcc_lo, s[0:1], v[2:3]
	v_cndmask_b32_e64 v5, 0, 1, vcc_lo
	v_subrev_co_ci_u32_e64 v29, null, 0, v4, vcc_lo
	v_cmp_class_f64_e64 vcc_lo, v[6:7], 0x204
	v_ldexp_f64 v[2:3], v[2:3], v5
	v_add_f64 v[14:15], v[2:3], 1.0
	v_add_f64 v[4:5], v[2:3], -1.0
	v_add_f64 v[16:17], v[14:15], -1.0
	v_add_f64 v[2:3], v[2:3], -v[16:17]
	v_rcp_f64_e32 v[16:17], v[14:15]
	v_fma_f64 v[24:25], -v[14:15], v[16:17], 1.0
	v_fma_f64 v[16:17], v[24:25], v[16:17], v[16:17]
	v_fma_f64 v[24:25], -v[14:15], v[16:17], 1.0
	v_fma_f64 v[16:17], v[24:25], v[16:17], v[16:17]
	v_mul_f64 v[24:25], v[4:5], v[16:17]
	v_mul_f64 v[27:28], v[14:15], v[24:25]
	v_fma_f64 v[14:15], v[24:25], v[14:15], -v[27:28]
	v_fma_f64 v[2:3], v[24:25], v[2:3], v[14:15]
	v_add_f64 v[14:15], v[27:28], v[2:3]
	v_add_f64 v[34:35], v[4:5], -v[14:15]
	v_add_f64 v[27:28], v[14:15], -v[27:28]
	;; [unrolled: 1-line block ×5, first 2 shown]
	v_add_f64 v[2:3], v[2:3], v[4:5]
	v_add_f64 v[2:3], v[34:35], v[2:3]
	v_mul_f64 v[2:3], v[16:17], v[2:3]
	v_add_f64 v[4:5], v[24:25], v[2:3]
	v_add_f64 v[14:15], v[4:5], -v[24:25]
	v_ldexp_f64 v[24:25], v[4:5], 1
	v_add_f64 v[2:3], v[2:3], -v[14:15]
	v_mul_f64 v[14:15], v[4:5], v[4:5]
	v_ldexp_f64 v[2:3], v[2:3], 1
	v_fma_f64 v[16:17], v[14:15], s[86:87], s[38:39]
	s_mov_b32 s38, 0xd7f4df2e
	s_mov_b32 s39, 0x3fc7474d
	v_readlane_b32 s86, v127, 14
	v_readlane_b32 s87, v127, 15
	v_mul_f64 v[4:5], v[4:5], v[14:15]
	s_mov_b32 s0, s86
	v_writelane_b32 v127, s0, 14
	v_writelane_b32 v127, s1, 15
	v_fma_f64 v[16:17], v[14:15], v[16:17], s[38:39]
	s_mov_b32 s38, 0x16291751
	s_mov_b32 s39, 0x3fcc71c0
	v_fma_f64 v[16:17], v[14:15], v[16:17], s[38:39]
	s_mov_b32 s38, 0x924920da
	s_mov_b32 s39, 0x3fd24924
	;; [unrolled: 1-line block ×3, first 2 shown]
	v_readlane_b32 s86, v127, 16
	v_readlane_b32 s87, v127, 17
	s_mov_b32 s0, s86
	v_writelane_b32 v127, s0, 16
	s_mov_b32 s99, s1
	v_writelane_b32 v127, s1, 17
	v_fma_f64 v[16:17], v[14:15], v[16:17], s[38:39]
	s_mov_b32 s38, 0x9999999c
	s_mov_b32 s39, 0x3fd99999
	;; [unrolled: 1-line block ×3, first 2 shown]
	v_fma_f64 v[16:17], v[14:15], v[16:17], s[38:39]
	v_readlane_b32 s38, v127, 18
	v_readlane_b32 s39, v127, 19
	s_mov_b32 s39, s69
	s_mov_b32 s68, 0xfefa39ef
	;; [unrolled: 1-line block ×6, first 2 shown]
	v_writelane_b32 v127, s4, 18
	v_writelane_b32 v127, s5, 19
	v_fma_f64 v[16:17], v[14:15], v[16:17], s[0:1]
	s_mov_b32 s0, 0x998fffa0
	s_mov_b32 s1, 0x401ba18a
	v_mul_f64 v[4:5], v[4:5], v[16:17]
	v_add_f64 v[14:15], v[24:25], v[4:5]
	v_add_f64 v[16:17], v[14:15], -v[24:25]
	v_add_f64 v[4:5], v[4:5], -v[16:17]
	v_add_f64 v[2:3], v[2:3], v[4:5]
	v_add_f64 v[4:5], v[14:15], v[2:3]
	v_add_f64 v[14:15], v[4:5], -v[14:15]
	v_add_f64 v[2:3], v[2:3], -v[14:15]
	v_cvt_f64_i32_e32 v[14:15], v29
	v_mul_f64 v[16:17], v[14:15], s[68:69]
	v_fma_f64 v[24:25], v[14:15], s[68:69], -v[16:17]
	s_mov_b32 s69, s39
	s_mov_b32 s38, 0x6a5dcb37
	;; [unrolled: 1-line block ×3, first 2 shown]
	v_fma_f64 v[14:15], v[14:15], s[42:43], v[24:25]
	s_mov_b32 s43, s85
	v_add_f64 v[24:25], v[16:17], v[14:15]
	v_add_f64 v[16:17], v[24:25], -v[16:17]
	v_add_f64 v[14:15], v[14:15], -v[16:17]
	v_add_f64 v[16:17], v[24:25], v[4:5]
	v_add_f64 v[27:28], v[16:17], -v[24:25]
	v_add_f64 v[34:35], v[16:17], -v[27:28]
	v_add_f64 v[4:5], v[4:5], -v[27:28]
	v_add_f64 v[24:25], v[24:25], -v[34:35]
	v_add_f64 v[4:5], v[4:5], v[24:25]
	v_add_f64 v[24:25], v[14:15], v[2:3]
	v_add_f64 v[27:28], v[24:25], -v[14:15]
	v_add_f64 v[4:5], v[24:25], v[4:5]
	v_add_f64 v[34:35], v[24:25], -v[27:28]
	v_add_f64 v[2:3], v[2:3], -v[27:28]
	;; [unrolled: 1-line block ×3, first 2 shown]
	v_add_f64 v[2:3], v[2:3], v[14:15]
	v_add_f64 v[14:15], v[16:17], v[4:5]
	v_add_f64 v[16:17], v[14:15], -v[16:17]
	v_add_f64 v[4:5], v[4:5], -v[16:17]
	v_add_f64 v[2:3], v[2:3], v[4:5]
	v_add_f64 v[2:3], v[14:15], v[2:3]
	v_cndmask_b32_e32 v3, v3, v7, vcc_lo
	v_cndmask_b32_e32 v2, v2, v6, vcc_lo
	v_div_scale_f64 v[4:5], null, s[0:1], s[0:1], v[2:3]
	v_rcp_f64_e32 v[14:15], v[4:5]
	v_fma_f64 v[16:17], -v[4:5], v[14:15], 1.0
	v_fma_f64 v[14:15], v[14:15], v[16:17], v[14:15]
	v_fma_f64 v[16:17], -v[4:5], v[14:15], 1.0
	v_fma_f64 v[14:15], v[14:15], v[16:17], v[14:15]
	v_div_scale_f64 v[16:17], vcc_lo, v[2:3], s[0:1], v[2:3]
	v_mul_f64 v[24:25], v[16:17], v[14:15]
	v_fma_f64 v[4:5], -v[4:5], v[24:25], v[16:17]
	v_div_fmas_f64 v[4:5], v[4:5], v[14:15], v[24:25]
	v_cmp_neq_f64_e32 vcc_lo, 0, v[6:7]
	v_div_fixup_f64 v[2:3], v[4:5], s[0:1], v[2:3]
	s_getpc_b64 s[0:1]
	s_add_u32 s0, s0, _ZL6K2_tab@rel32@lo+4
	s_addc_u32 s1, s1, _ZL6K2_tab@rel32@hi+12
	v_mul_f64 v[2:3], 0x40490000, v[2:3]
	v_cndmask_b32_e32 v3, 0xfff00000, v3, vcc_lo
	v_cndmask_b32_e32 v2, 0, v2, vcc_lo
	v_floor_f64_e32 v[4:5], v[2:3]
	v_cvt_i32_f64_e32 v4, v[4:5]
	v_cvt_f64_i32_e32 v[5:6], v4
	v_add_f64 v[2:3], v[2:3], -v[5:6]
	v_ashrrev_i32_e32 v5, 31, v4
	v_lshlrev_b64 v[4:5], 3, v[4:5]
	v_add_co_u32 v4, vcc_lo, s0, v4
	v_add_co_ci_u32_e64 v5, null, s1, v5, vcc_lo
	s_mov_b32 s0, 0x652b82fe
	s_mov_b32 s1, 0x3ff71547
	global_load_dwordx4 v[34:37], v[4:5], off
	v_add_f64 v[6:7], -v[2:3], 1.0
	s_waitcnt vmcnt(0)
	v_mul_f64 v[2:3], v[2:3], v[36:37]
	v_fma_f64 v[2:3], v[6:7], v[34:35], v[2:3]
	v_mul_f64 v[4:5], v[2:3], s[0:1]
	s_mov_b32 s0, 0xfca7ab0c
	s_mov_b32 s1, 0x3e928af3
	v_cmp_nlt_f64_e32 vcc_lo, 0x40900000, v[2:3]
	v_cmp_ngt_f64_e64 s4, 0xc090cc00, v[2:3]
	v_rndne_f64_e32 v[4:5], v[4:5]
	v_fma_f64 v[6:7], v[4:5], s[70:71], v[2:3]
	v_fma_f64 v[6:7], v[4:5], s[42:43], v[6:7]
	v_cvt_i32_f64_e32 v4, v[4:5]
	v_fma_f64 v[14:15], v[6:7], s[38:39], s[0:1]
	s_mov_b32 s0, 0x623fde64
	s_mov_b32 s1, 0x3ec71dee
	v_fma_f64 v[14:15], v[6:7], v[14:15], s[0:1]
	s_mov_b32 s0, 0x7c89e6b0
	s_mov_b32 s1, 0x3efa0199
	;; [unrolled: 3-line block ×8, first 2 shown]
	v_fma_f64 v[14:15], v[6:7], v[14:15], s[0:1]
	v_fma_f64 v[14:15], v[6:7], v[14:15], 1.0
	v_fma_f64 v[6:7], v[6:7], v[14:15], 1.0
	v_ldexp_f64 v[4:5], v[6:7], v4
	v_cndmask_b32_e32 v5, 0x7ff00000, v5, vcc_lo
	s_and_b32 vcc_lo, s4, vcc_lo
	v_cndmask_b32_e32 v72, 0, v4, vcc_lo
	v_cndmask_b32_e64 v73, 0, v5, s4
.LBB1_171:                              ;   in Loop: Header=BB1_79 Depth=1
	s_or_b32 exec_lo, exec_lo, s54
.LBB1_172:                              ;   in Loop: Header=BB1_79 Depth=1
	v_writelane_b32 v127, s68, 4
	v_writelane_b32 v127, s69, 5
	s_andn2_saveexec_b32 s4, s48
	s_cbranch_execz .LBB1_77
; %bb.173:                              ;   in Loop: Header=BB1_79 Depth=1
	v_add_f64 v[2:3], v[20:21], v[20:21]
	s_waitcnt vmcnt(0)
	v_mul_f64 v[72:73], v[20:21], v[2:3]
	s_branch .LBB1_77
.LBB1_174:
	s_or_b32 exec_lo, exec_lo, s33
	v_readlane_b32 s0, v127, 0
	v_readlane_b32 s1, v127, 1
	;; [unrolled: 1-line block ×4, first 2 shown]
	v_mul_f64 v[0:1], s[0:1], 0.5
	s_mov_b32 s0, 0x7b2969f6
	s_mov_b32 s1, 0x3df0a49b
	v_div_scale_f64 v[2:3], null, v[0:1], v[0:1], s[0:1]
	v_div_scale_f64 v[8:9], vcc_lo, s[0:1], v[0:1], s[0:1]
	v_rcp_f64_e32 v[4:5], v[2:3]
	v_fma_f64 v[6:7], -v[2:3], v[4:5], 1.0
	v_fma_f64 v[4:5], v[4:5], v[6:7], v[4:5]
	v_fma_f64 v[6:7], -v[2:3], v[4:5], 1.0
	v_fma_f64 v[4:5], v[4:5], v[6:7], v[4:5]
	v_mul_f64 v[6:7], v[8:9], v[4:5]
	v_fma_f64 v[2:3], -v[2:3], v[6:7], v[8:9]
	v_div_fmas_f64 v[2:3], v[2:3], v[4:5], v[6:7]
	v_div_fixup_f64 v[2:3], v[2:3], v[0:1], s[0:1]
	v_mul_f64 v[2:3], v[2:3], s[0:1]
	s_mov_b32 s0, 0x208d29e
	s_mov_b32 s1, 0x449637f1
	v_div_scale_f64 v[4:5], null, v[0:1], v[0:1], v[2:3]
	v_div_scale_f64 v[10:11], vcc_lo, v[2:3], v[0:1], v[2:3]
	v_rcp_f64_e32 v[6:7], v[4:5]
	v_fma_f64 v[8:9], -v[4:5], v[6:7], 1.0
	v_fma_f64 v[6:7], v[6:7], v[8:9], v[6:7]
	v_fma_f64 v[8:9], -v[4:5], v[6:7], 1.0
	v_fma_f64 v[6:7], v[6:7], v[8:9], v[6:7]
	v_mul_f64 v[8:9], v[10:11], v[6:7]
	v_fma_f64 v[4:5], -v[4:5], v[8:9], v[10:11]
	v_div_fmas_f64 v[4:5], v[4:5], v[6:7], v[8:9]
	v_div_fixup_f64 v[0:1], v[4:5], v[0:1], v[2:3]
	s_clause 0x1
	buffer_load_dword v2, off, s[100:103], 0 offset:168
	buffer_load_dword v3, off, s[100:103], 0 offset:172
	v_mul_f64 v[0:1], v[0:1], s[0:1]
	v_mul_f64 v[0:1], v[0:1], s[0:1]
	s_mov_b32 s0, 0x53c8d4f1
	s_mov_b32 s1, 0x400921fb
	v_mul_f64 v[0:1], v[0:1], 4.0
	v_mul_f64 v[0:1], v[0:1], s[0:1]
	v_readlane_b32 s0, v127, 10
	v_readlane_b32 s1, v127, 11
	v_mul_f64 v[0:1], v[0:1], s[2:3]
	s_waitcnt vmcnt(0)
	v_mul_f64 v[2:3], s[2:3], v[2:3]
	v_mul_f64 v[2:3], s[2:3], v[2:3]
	v_mul_f64 v[2:3], s[2:3], v[2:3]
	v_mul_f64 v[0:1], v[0:1], v[2:3]
	s_clause 0x1
	buffer_load_dword v2, off, s[100:103], 0 offset:232
	buffer_load_dword v3, off, s[100:103], 0 offset:236
	s_waitcnt vmcnt(0)
	v_mov_b32_e32 v3, 0
	v_add_nc_u32_e32 v2, 2, v2
	v_lshlrev_b64 v[2:3], 3, v[2:3]
	v_add_co_u32 v2, vcc_lo, s0, v2
	v_add_co_ci_u32_e64 v3, null, s1, v3, vcc_lo
	global_store_dwordx2 v[2:3], v[0:1], off
.LBB1_175:
	s_endpgm
	.section	.rodata,"a",@progbits
	.p2align	6, 0x0
	.amdhsa_kernel _Z5task2PdS_ii
		.amdhsa_group_segment_fixed_size 0
		.amdhsa_private_segment_fixed_size 244
		.amdhsa_kernarg_size 280
		.amdhsa_user_sgpr_count 6
		.amdhsa_user_sgpr_private_segment_buffer 1
		.amdhsa_user_sgpr_dispatch_ptr 0
		.amdhsa_user_sgpr_queue_ptr 0
		.amdhsa_user_sgpr_kernarg_segment_ptr 1
		.amdhsa_user_sgpr_dispatch_id 0
		.amdhsa_user_sgpr_flat_scratch_init 0
		.amdhsa_user_sgpr_private_segment_size 0
		.amdhsa_wavefront_size32 1
		.amdhsa_uses_dynamic_stack 0
		.amdhsa_system_sgpr_private_segment_wavefront_offset 1
		.amdhsa_system_sgpr_workgroup_id_x 1
		.amdhsa_system_sgpr_workgroup_id_y 1
		.amdhsa_system_sgpr_workgroup_id_z 0
		.amdhsa_system_sgpr_workgroup_info 0
		.amdhsa_system_vgpr_workitem_id 1
		.amdhsa_next_free_vgpr 128
		.amdhsa_next_free_sgpr 104
		.amdhsa_reserve_vcc 1
		.amdhsa_reserve_flat_scratch 0
		.amdhsa_float_round_mode_32 0
		.amdhsa_float_round_mode_16_64 0
		.amdhsa_float_denorm_mode_32 3
		.amdhsa_float_denorm_mode_16_64 3
		.amdhsa_dx10_clamp 1
		.amdhsa_ieee_mode 1
		.amdhsa_fp16_overflow 0
		.amdhsa_workgroup_processor_mode 1
		.amdhsa_memory_ordered 1
		.amdhsa_forward_progress 1
		.amdhsa_shared_vgpr_count 0
		.amdhsa_exception_fp_ieee_invalid_op 0
		.amdhsa_exception_fp_denorm_src 0
		.amdhsa_exception_fp_ieee_div_zero 0
		.amdhsa_exception_fp_ieee_overflow 0
		.amdhsa_exception_fp_ieee_underflow 0
		.amdhsa_exception_fp_ieee_inexact 0
		.amdhsa_exception_int_div_zero 0
	.end_amdhsa_kernel
	.text
.Lfunc_end1:
	.size	_Z5task2PdS_ii, .Lfunc_end1-_Z5task2PdS_ii
                                        ; -- End function
	.set _Z5task2PdS_ii.num_vgpr, 128
	.set _Z5task2PdS_ii.num_agpr, 0
	.set _Z5task2PdS_ii.numbered_sgpr, 104
	.set _Z5task2PdS_ii.num_named_barrier, 0
	.set _Z5task2PdS_ii.private_seg_size, 244
	.set _Z5task2PdS_ii.uses_vcc, 1
	.set _Z5task2PdS_ii.uses_flat_scratch, 0
	.set _Z5task2PdS_ii.has_dyn_sized_stack, 0
	.set _Z5task2PdS_ii.has_recursion, 0
	.set _Z5task2PdS_ii.has_indirect_call, 0
	.section	.AMDGPU.csdata,"",@progbits
; Kernel info:
; codeLenInByte = 73016
; TotalNumSgprs: 106
; NumVgprs: 128
; ScratchSize: 244
; MemoryBound: 0
; FloatMode: 240
; IeeeMode: 1
; LDSByteSize: 0 bytes/workgroup (compile time only)
; SGPRBlocks: 0
; VGPRBlocks: 15
; NumSGPRsForWavesPerEU: 106
; NumVGPRsForWavesPerEU: 128
; Occupancy: 8
; WaveLimiterHint : 0
; COMPUTE_PGM_RSRC2:SCRATCH_EN: 1
; COMPUTE_PGM_RSRC2:USER_SGPR: 6
; COMPUTE_PGM_RSRC2:TRAP_HANDLER: 0
; COMPUTE_PGM_RSRC2:TGID_X_EN: 1
; COMPUTE_PGM_RSRC2:TGID_Y_EN: 1
; COMPUTE_PGM_RSRC2:TGID_Z_EN: 0
; COMPUTE_PGM_RSRC2:TIDIG_COMP_CNT: 1
	.text
	.p2alignl 6, 3214868480
	.fill 48, 4, 3214868480
	.section	.AMDGPU.gpr_maximums,"",@progbits
	.set amdgpu.max_num_vgpr, 0
	.set amdgpu.max_num_agpr, 0
	.set amdgpu.max_num_sgpr, 0
	.text
	.type	_ZL6K2_tab,@object              ; @_ZL6K2_tab
	.section	.rodata,"a",@progbits
	.p2align	4, 0x0
_ZL6K2_tab:
	.quad	0xc0257e76ea422899              ; double -10.747000999999999
	.quad	0xc022b9a2a4db163c              ; double -9.3625690000000005
	;; [unrolled: 1-line block ×16, first 2 shown]
	.quad	0x3fd0ead0c3d25248              ; double 0.26433200000000001
	.quad	0x3fe301797cc39ffd              ; double 0.59392999999999996
	;; [unrolled: 1-line block ×34, first 2 shown]
	.size	_ZL6K2_tab, 400

	.type	__hip_cuid_cea6605a14bca9d0,@object ; @__hip_cuid_cea6605a14bca9d0
	.section	.bss,"aw",@nobits
	.globl	__hip_cuid_cea6605a14bca9d0
__hip_cuid_cea6605a14bca9d0:
	.byte	0                               ; 0x0
	.size	__hip_cuid_cea6605a14bca9d0, 1

	.ident	"AMD clang version 22.0.0git (https://github.com/RadeonOpenCompute/llvm-project roc-7.2.4 26084 f58b06dce1f9c15707c5f808fd002e18c2accf7e)"
	.section	".note.GNU-stack","",@progbits
	.addrsig
	.addrsig_sym __hip_cuid_cea6605a14bca9d0
	.amdgpu_metadata
---
amdhsa.kernels:
  - .args:
      - .actual_access:  write_only
        .address_space:  global
        .offset:         0
        .size:           8
        .value_kind:     global_buffer
      - .actual_access:  read_only
        .address_space:  global
        .offset:         8
        .size:           8
        .value_kind:     global_buffer
      - .offset:         16
        .size:           4
        .value_kind:     by_value
      - .offset:         20
        .size:           4
        .value_kind:     by_value
      - .offset:         24
        .size:           4
        .value_kind:     hidden_block_count_x
      - .offset:         28
        .size:           4
        .value_kind:     hidden_block_count_y
      - .offset:         32
        .size:           4
        .value_kind:     hidden_block_count_z
      - .offset:         36
        .size:           2
        .value_kind:     hidden_group_size_x
      - .offset:         38
        .size:           2
        .value_kind:     hidden_group_size_y
      - .offset:         40
        .size:           2
        .value_kind:     hidden_group_size_z
      - .offset:         42
        .size:           2
        .value_kind:     hidden_remainder_x
      - .offset:         44
        .size:           2
        .value_kind:     hidden_remainder_y
      - .offset:         46
        .size:           2
        .value_kind:     hidden_remainder_z
      - .offset:         64
        .size:           8
        .value_kind:     hidden_global_offset_x
      - .offset:         72
        .size:           8
        .value_kind:     hidden_global_offset_y
      - .offset:         80
        .size:           8
        .value_kind:     hidden_global_offset_z
      - .offset:         88
        .size:           2
        .value_kind:     hidden_grid_dims
    .group_segment_fixed_size: 0
    .kernarg_segment_align: 8
    .kernarg_segment_size: 280
    .language:       OpenCL C
    .language_version:
      - 2
      - 0
    .max_flat_workgroup_size: 1024
    .name:           _Z5task1PdS_ii
    .private_segment_fixed_size: 196
    .sgpr_count:     107
    .sgpr_spill_count: 24
    .symbol:         _Z5task1PdS_ii.kd
    .uniform_work_group_size: 1
    .uses_dynamic_stack: false
    .vgpr_count:     128
    .vgpr_spill_count: 52
    .wavefront_size: 32
    .workgroup_processor_mode: 1
  - .args:
      - .actual_access:  write_only
        .address_space:  global
        .offset:         0
        .size:           8
        .value_kind:     global_buffer
      - .actual_access:  read_only
        .address_space:  global
        .offset:         8
        .size:           8
        .value_kind:     global_buffer
      - .offset:         16
        .size:           4
        .value_kind:     by_value
      - .offset:         20
        .size:           4
        .value_kind:     by_value
      - .offset:         24
        .size:           4
        .value_kind:     hidden_block_count_x
      - .offset:         28
        .size:           4
        .value_kind:     hidden_block_count_y
      - .offset:         32
        .size:           4
        .value_kind:     hidden_block_count_z
      - .offset:         36
        .size:           2
        .value_kind:     hidden_group_size_x
      - .offset:         38
        .size:           2
        .value_kind:     hidden_group_size_y
      - .offset:         40
        .size:           2
        .value_kind:     hidden_group_size_z
      - .offset:         42
        .size:           2
        .value_kind:     hidden_remainder_x
      - .offset:         44
        .size:           2
        .value_kind:     hidden_remainder_y
      - .offset:         46
        .size:           2
        .value_kind:     hidden_remainder_z
      - .offset:         64
        .size:           8
        .value_kind:     hidden_global_offset_x
      - .offset:         72
        .size:           8
        .value_kind:     hidden_global_offset_y
      - .offset:         80
        .size:           8
        .value_kind:     hidden_global_offset_z
      - .offset:         88
        .size:           2
        .value_kind:     hidden_grid_dims
    .group_segment_fixed_size: 0
    .kernarg_segment_align: 8
    .kernarg_segment_size: 280
    .language:       OpenCL C
    .language_version:
      - 2
      - 0
    .max_flat_workgroup_size: 1024
    .name:           _Z5task2PdS_ii
    .private_segment_fixed_size: 244
    .sgpr_count:     106
    .sgpr_spill_count: 64
    .symbol:         _Z5task2PdS_ii.kd
    .uniform_work_group_size: 1
    .uses_dynamic_stack: false
    .vgpr_count:     128
    .vgpr_spill_count: 68
    .wavefront_size: 32
    .workgroup_processor_mode: 1
amdhsa.target:   amdgcn-amd-amdhsa--gfx1030
amdhsa.version:
  - 1
  - 2
...

	.end_amdgpu_metadata
